;; amdgpu-corpus repo=ROCm/rocFFT kind=compiled arch=gfx950 opt=O3
	.text
	.amdgcn_target "amdgcn-amd-amdhsa--gfx950"
	.amdhsa_code_object_version 6
	.protected	fft_rtc_fwd_len3750_factors_3_5_5_10_5_wgs_125_tpt_125_halfLds_dp_op_CI_CI_unitstride_sbrr_C2R_dirReg ; -- Begin function fft_rtc_fwd_len3750_factors_3_5_5_10_5_wgs_125_tpt_125_halfLds_dp_op_CI_CI_unitstride_sbrr_C2R_dirReg
	.globl	fft_rtc_fwd_len3750_factors_3_5_5_10_5_wgs_125_tpt_125_halfLds_dp_op_CI_CI_unitstride_sbrr_C2R_dirReg
	.p2align	8
	.type	fft_rtc_fwd_len3750_factors_3_5_5_10_5_wgs_125_tpt_125_halfLds_dp_op_CI_CI_unitstride_sbrr_C2R_dirReg,@function
fft_rtc_fwd_len3750_factors_3_5_5_10_5_wgs_125_tpt_125_halfLds_dp_op_CI_CI_unitstride_sbrr_C2R_dirReg: ; @fft_rtc_fwd_len3750_factors_3_5_5_10_5_wgs_125_tpt_125_halfLds_dp_op_CI_CI_unitstride_sbrr_C2R_dirReg
; %bb.0:
	s_load_dwordx4 s[4:7], s[0:1], 0x58
	s_load_dwordx4 s[8:11], s[0:1], 0x0
	;; [unrolled: 1-line block ×3, first 2 shown]
	v_mul_u32_u24_e32 v1, 0x20d, v0
	v_add_u32_sdwa v6, s2, v1 dst_sel:DWORD dst_unused:UNUSED_PAD src0_sel:DWORD src1_sel:WORD_1
	v_mov_b32_e32 v4, 0
	s_waitcnt lgkmcnt(0)
	v_cmp_lt_u64_e64 s[2:3], s[10:11], 2
	v_mov_b32_e32 v7, v4
	s_and_b64 vcc, exec, s[2:3]
	v_mov_b64_e32 v[2:3], 0
	s_cbranch_vccnz .LBB0_8
; %bb.1:
	s_load_dwordx2 s[2:3], s[0:1], 0x10
	s_add_u32 s16, s14, 8
	s_addc_u32 s17, s15, 0
	s_add_u32 s18, s12, 8
	s_addc_u32 s19, s13, 0
	s_waitcnt lgkmcnt(0)
	s_add_u32 s20, s2, 8
	v_mov_b64_e32 v[2:3], 0
	s_addc_u32 s21, s3, 0
	s_mov_b64 s[22:23], 1
	v_mov_b64_e32 v[130:131], v[2:3]
.LBB0_2:                                ; =>This Inner Loop Header: Depth=1
	s_load_dwordx2 s[24:25], s[20:21], 0x0
                                        ; implicit-def: $vgpr134_vgpr135
	s_waitcnt lgkmcnt(0)
	v_or_b32_e32 v5, s25, v7
	v_cmp_ne_u64_e32 vcc, 0, v[4:5]
	s_and_saveexec_b64 s[2:3], vcc
	s_xor_b64 s[26:27], exec, s[2:3]
	s_cbranch_execz .LBB0_4
; %bb.3:                                ;   in Loop: Header=BB0_2 Depth=1
	v_cvt_f32_u32_e32 v1, s24
	v_cvt_f32_u32_e32 v5, s25
	s_sub_u32 s2, 0, s24
	s_subb_u32 s3, 0, s25
	v_fmac_f32_e32 v1, 0x4f800000, v5
	v_rcp_f32_e32 v1, v1
	s_nop 0
	v_mul_f32_e32 v1, 0x5f7ffffc, v1
	v_mul_f32_e32 v5, 0x2f800000, v1
	v_trunc_f32_e32 v5, v5
	v_fmac_f32_e32 v1, 0xcf800000, v5
	v_cvt_u32_f32_e32 v5, v5
	v_cvt_u32_f32_e32 v1, v1
	v_mul_lo_u32 v8, s2, v5
	v_mul_hi_u32 v10, s2, v1
	v_mul_lo_u32 v9, s3, v1
	v_add_u32_e32 v10, v10, v8
	v_mul_lo_u32 v12, s2, v1
	v_add_u32_e32 v13, v10, v9
	v_mul_hi_u32 v8, v1, v12
	v_mul_hi_u32 v11, v1, v13
	v_mul_lo_u32 v10, v1, v13
	v_mov_b32_e32 v9, v4
	v_lshl_add_u64 v[8:9], v[8:9], 0, v[10:11]
	v_mul_hi_u32 v11, v5, v12
	v_mul_lo_u32 v12, v5, v12
	v_add_co_u32_e32 v8, vcc, v8, v12
	v_mul_hi_u32 v10, v5, v13
	s_nop 0
	v_addc_co_u32_e32 v8, vcc, v9, v11, vcc
	v_mov_b32_e32 v9, v4
	s_nop 0
	v_addc_co_u32_e32 v11, vcc, 0, v10, vcc
	v_mul_lo_u32 v10, v5, v13
	v_lshl_add_u64 v[8:9], v[8:9], 0, v[10:11]
	v_add_co_u32_e32 v1, vcc, v1, v8
	v_mul_lo_u32 v10, s2, v1
	s_nop 0
	v_addc_co_u32_e32 v5, vcc, v5, v9, vcc
	v_mul_lo_u32 v8, s2, v5
	v_mul_hi_u32 v9, s2, v1
	v_add_u32_e32 v8, v9, v8
	v_mul_lo_u32 v9, s3, v1
	v_add_u32_e32 v12, v8, v9
	v_mul_hi_u32 v14, v5, v10
	v_mul_lo_u32 v15, v5, v10
	v_mul_hi_u32 v9, v1, v12
	v_mul_lo_u32 v8, v1, v12
	v_mul_hi_u32 v10, v1, v10
	v_mov_b32_e32 v11, v4
	v_lshl_add_u64 v[8:9], v[10:11], 0, v[8:9]
	v_add_co_u32_e32 v8, vcc, v8, v15
	v_mul_hi_u32 v13, v5, v12
	s_nop 0
	v_addc_co_u32_e32 v8, vcc, v9, v14, vcc
	v_mul_lo_u32 v10, v5, v12
	s_nop 0
	v_addc_co_u32_e32 v11, vcc, 0, v13, vcc
	v_mov_b32_e32 v9, v4
	v_lshl_add_u64 v[8:9], v[8:9], 0, v[10:11]
	v_add_co_u32_e32 v1, vcc, v1, v8
	v_mul_hi_u32 v10, v6, v1
	s_nop 0
	v_addc_co_u32_e32 v5, vcc, v5, v9, vcc
	v_mad_u64_u32 v[8:9], s[2:3], v6, v5, 0
	v_mov_b32_e32 v11, v4
	v_lshl_add_u64 v[8:9], v[10:11], 0, v[8:9]
	v_mad_u64_u32 v[12:13], s[2:3], v7, v1, 0
	v_add_co_u32_e32 v1, vcc, v8, v12
	v_mad_u64_u32 v[10:11], s[2:3], v7, v5, 0
	s_nop 0
	v_addc_co_u32_e32 v8, vcc, v9, v13, vcc
	v_mov_b32_e32 v9, v4
	s_nop 0
	v_addc_co_u32_e32 v11, vcc, 0, v11, vcc
	v_lshl_add_u64 v[8:9], v[8:9], 0, v[10:11]
	v_mul_lo_u32 v1, s25, v8
	v_mul_lo_u32 v5, s24, v9
	v_mad_u64_u32 v[10:11], s[2:3], s24, v8, 0
	v_add3_u32 v1, v11, v5, v1
	v_sub_u32_e32 v5, v7, v1
	v_mov_b32_e32 v11, s25
	v_sub_co_u32_e32 v14, vcc, v6, v10
	v_lshl_add_u64 v[12:13], v[8:9], 0, 1
	s_nop 0
	v_subb_co_u32_e64 v5, s[2:3], v5, v11, vcc
	v_subrev_co_u32_e64 v10, s[2:3], s24, v14
	v_subb_co_u32_e32 v1, vcc, v7, v1, vcc
	s_nop 0
	v_subbrev_co_u32_e64 v5, s[2:3], 0, v5, s[2:3]
	v_cmp_le_u32_e64 s[2:3], s25, v5
	v_cmp_le_u32_e32 vcc, s25, v1
	s_nop 0
	v_cndmask_b32_e64 v11, 0, -1, s[2:3]
	v_cmp_le_u32_e64 s[2:3], s24, v10
	s_nop 1
	v_cndmask_b32_e64 v10, 0, -1, s[2:3]
	v_cmp_eq_u32_e64 s[2:3], s25, v5
	s_nop 1
	v_cndmask_b32_e64 v5, v11, v10, s[2:3]
	v_lshl_add_u64 v[10:11], v[8:9], 0, 2
	v_cmp_ne_u32_e64 s[2:3], 0, v5
	s_nop 1
	v_cndmask_b32_e64 v5, v13, v11, s[2:3]
	v_cndmask_b32_e64 v11, 0, -1, vcc
	v_cmp_le_u32_e32 vcc, s24, v14
	s_nop 1
	v_cndmask_b32_e64 v13, 0, -1, vcc
	v_cmp_eq_u32_e32 vcc, s25, v1
	s_nop 1
	v_cndmask_b32_e32 v1, v11, v13, vcc
	v_cmp_ne_u32_e32 vcc, 0, v1
	v_cndmask_b32_e64 v1, v12, v10, s[2:3]
	s_nop 0
	v_cndmask_b32_e32 v135, v9, v5, vcc
	v_cndmask_b32_e32 v134, v8, v1, vcc
.LBB0_4:                                ;   in Loop: Header=BB0_2 Depth=1
	s_andn2_saveexec_b64 s[2:3], s[26:27]
	s_cbranch_execz .LBB0_6
; %bb.5:                                ;   in Loop: Header=BB0_2 Depth=1
	v_cvt_f32_u32_e32 v1, s24
	s_sub_i32 s26, 0, s24
	v_mov_b32_e32 v135, v4
	v_rcp_iflag_f32_e32 v1, v1
	s_nop 0
	v_mul_f32_e32 v1, 0x4f7ffffe, v1
	v_cvt_u32_f32_e32 v1, v1
	v_mul_lo_u32 v5, s26, v1
	v_mul_hi_u32 v5, v1, v5
	v_add_u32_e32 v1, v1, v5
	v_mul_hi_u32 v1, v6, v1
	v_mul_lo_u32 v5, v1, s24
	v_sub_u32_e32 v5, v6, v5
	v_add_u32_e32 v8, 1, v1
	v_subrev_u32_e32 v9, s24, v5
	v_cmp_le_u32_e32 vcc, s24, v5
	s_nop 1
	v_cndmask_b32_e32 v5, v5, v9, vcc
	v_cndmask_b32_e32 v1, v1, v8, vcc
	v_add_u32_e32 v8, 1, v1
	v_cmp_le_u32_e32 vcc, s24, v5
	s_nop 1
	v_cndmask_b32_e32 v134, v1, v8, vcc
.LBB0_6:                                ;   in Loop: Header=BB0_2 Depth=1
	s_or_b64 exec, exec, s[2:3]
	v_mad_u64_u32 v[8:9], s[2:3], v134, s24, 0
	s_load_dwordx2 s[2:3], s[18:19], 0x0
	v_mul_lo_u32 v1, v135, s24
	v_mul_lo_u32 v5, v134, s25
	s_load_dwordx2 s[24:25], s[16:17], 0x0
	s_add_u32 s22, s22, 1
	v_add3_u32 v1, v9, v5, v1
	v_sub_co_u32_e32 v5, vcc, v6, v8
	s_addc_u32 s23, s23, 0
	s_nop 0
	v_subb_co_u32_e32 v1, vcc, v7, v1, vcc
	s_add_u32 s16, s16, 8
	s_waitcnt lgkmcnt(0)
	v_mul_lo_u32 v6, s2, v1
	v_mul_lo_u32 v7, s3, v5
	v_mad_u64_u32 v[2:3], s[2:3], s2, v5, v[2:3]
	s_addc_u32 s17, s17, 0
	v_add3_u32 v3, v7, v3, v6
	v_mul_lo_u32 v1, s24, v1
	v_mul_lo_u32 v6, s25, v5
	v_mad_u64_u32 v[130:131], s[2:3], s24, v5, v[130:131]
	s_add_u32 s18, s18, 8
	v_add3_u32 v131, v6, v131, v1
	s_addc_u32 s19, s19, 0
	v_mov_b64_e32 v[6:7], s[10:11]
	s_add_u32 s20, s20, 8
	v_cmp_ge_u64_e32 vcc, s[22:23], v[6:7]
	s_addc_u32 s21, s21, 0
	s_cbranch_vccnz .LBB0_9
; %bb.7:                                ;   in Loop: Header=BB0_2 Depth=1
	v_mov_b64_e32 v[6:7], v[134:135]
	s_branch .LBB0_2
.LBB0_8:
	v_mov_b64_e32 v[130:131], v[2:3]
	v_mov_b64_e32 v[134:135], v[6:7]
.LBB0_9:
	s_load_dwordx2 s[18:19], s[0:1], 0x28
	s_lshl_b64 s[16:17], s[10:11], 3
	s_add_u32 s2, s14, s16
	s_addc_u32 s3, s15, s17
                                        ; implicit-def: $vgpr132
	s_waitcnt lgkmcnt(0)
	v_cmp_gt_u64_e64 s[0:1], s[18:19], v[134:135]
	v_cmp_le_u64_e32 vcc, s[18:19], v[134:135]
	s_and_saveexec_b64 s[10:11], vcc
	s_xor_b64 s[10:11], exec, s[10:11]
; %bb.10:
	s_mov_b32 s14, 0x20c49bb
	v_mul_hi_u32 v1, v0, s14
	v_mul_u32_u24_e32 v1, 0x7d, v1
	v_sub_u32_e32 v132, v0, v1
                                        ; implicit-def: $vgpr0
                                        ; implicit-def: $vgpr2_vgpr3
; %bb.11:
	s_or_saveexec_b64 s[10:11], s[10:11]
	s_load_dwordx2 s[2:3], s[2:3], 0x0
	s_xor_b64 exec, exec, s[10:11]
	s_cbranch_execz .LBB0_15
; %bb.12:
	s_add_u32 s12, s12, s16
	s_addc_u32 s13, s13, s17
	s_load_dwordx2 s[12:13], s[12:13], 0x0
	s_mov_b32 s14, 0x20c49bb
	s_mov_b32 s15, 0x8000
	s_waitcnt lgkmcnt(0)
	v_mul_lo_u32 v1, s13, v134
	v_mul_lo_u32 v6, s12, v135
	v_mad_u64_u32 v[4:5], s[12:13], s12, v134, 0
	v_add3_u32 v5, v5, v6, v1
	v_mul_hi_u32 v1, v0, s14
	v_mul_u32_u24_e32 v1, 0x7d, v1
	v_sub_u32_e32 v132, v0, v1
	v_lshl_add_u64 v[0:1], v[4:5], 4, s[4:5]
	v_lshl_add_u64 v[2:3], v[2:3], 4, v[0:1]
	v_lshlrev_b32_e32 v0, 4, v132
	v_mov_b32_e32 v1, 0
	v_lshl_add_u64 v[116:117], v[2:3], 0, v[0:1]
	s_movk_i32 s4, 0x1000
	v_add_co_u32_e32 v28, vcc, s4, v116
	s_movk_i32 s4, 0x2000
	s_nop 0
	v_addc_co_u32_e32 v29, vcc, 0, v117, vcc
	v_add_co_u32_e32 v76, vcc, s4, v116
	s_movk_i32 s4, 0x3000
	s_nop 0
	v_addc_co_u32_e32 v77, vcc, 0, v117, vcc
	;; [unrolled: 4-line block ×6, first 2 shown]
	v_add_co_u32_e32 v86, vcc, s14, v116
	s_mov_b32 s4, 0x9000
	s_nop 0
	v_addc_co_u32_e32 v87, vcc, 0, v117, vcc
	v_add_co_u32_e32 v88, vcc, s15, v116
	global_load_dwordx4 v[4:7], v[116:117], off
	global_load_dwordx4 v[8:11], v[116:117], off offset:2000
	v_addc_co_u32_e32 v89, vcc, 0, v117, vcc
	v_add_co_u32_e32 v92, vcc, s4, v116
	s_mov_b32 s4, 0xa000
	s_nop 0
	v_addc_co_u32_e32 v93, vcc, 0, v117, vcc
	v_add_co_u32_e32 v100, vcc, s4, v116
	s_mov_b32 s4, 0xb000
	s_nop 0
	;; [unrolled: 4-line block ×4, first 2 shown]
	v_addc_co_u32_e32 v119, vcc, 0, v117, vcc
	v_add_co_u32_e32 v120, vcc, s4, v116
	global_load_dwordx4 v[12:15], v[116:117], off offset:4000
	global_load_dwordx4 v[16:19], v[28:29], off offset:1904
	v_addc_co_u32_e32 v121, vcc, 0, v117, vcc
	v_add_co_u32_e32 v122, vcc, 0xe000, v116
	global_load_dwordx4 v[20:23], v[28:29], off offset:3904
	global_load_dwordx4 v[24:27], v[76:77], off offset:1808
	v_addc_co_u32_e32 v123, vcc, 0, v117, vcc
	global_load_dwordx4 v[28:31], v[76:77], off offset:3808
	global_load_dwordx4 v[32:35], v[78:79], off offset:1712
	global_load_dwordx4 v[36:39], v[78:79], off offset:3712
	global_load_dwordx4 v[40:43], v[80:81], off offset:1616
	global_load_dwordx4 v[44:47], v[80:81], off offset:3616
	global_load_dwordx4 v[48:51], v[82:83], off offset:1520
	global_load_dwordx4 v[52:55], v[82:83], off offset:3520
	global_load_dwordx4 v[56:59], v[84:85], off offset:1424
	global_load_dwordx4 v[60:63], v[84:85], off offset:3424
	global_load_dwordx4 v[64:67], v[86:87], off offset:1328
	global_load_dwordx4 v[68:71], v[86:87], off offset:3328
	global_load_dwordx4 v[72:75], v[88:89], off offset:1232
	global_load_dwordx4 v[76:79], v[88:89], off offset:3232
	global_load_dwordx4 v[80:83], v[92:93], off offset:1136
	s_nop 0
	global_load_dwordx4 v[84:87], v[92:93], off offset:3136
	global_load_dwordx4 v[88:91], v[100:101], off offset:1040
	s_nop 0
	global_load_dwordx4 v[92:95], v[100:101], off offset:3040
	global_load_dwordx4 v[96:99], v[108:109], off offset:944
	s_nop 0
	global_load_dwordx4 v[100:103], v[108:109], off offset:2944
	global_load_dwordx4 v[104:107], v[118:119], off offset:848
	s_nop 0
	global_load_dwordx4 v[108:111], v[118:119], off offset:2848
	global_load_dwordx4 v[112:115], v[120:121], off offset:752
	s_nop 0
	global_load_dwordx4 v[116:119], v[120:121], off offset:2752
	s_nop 0
	global_load_dwordx4 v[120:123], v[122:123], off offset:656
	s_movk_i32 s4, 0x7c
	v_add_u32_e32 v0, 0, v0
	v_cmp_eq_u32_e32 vcc, s4, v132
	s_waitcnt vmcnt(29)
	ds_write_b128 v0, v[4:7]
	s_waitcnt vmcnt(28)
	ds_write_b128 v0, v[8:11] offset:2000
	s_waitcnt vmcnt(27)
	ds_write_b128 v0, v[12:15] offset:4000
	;; [unrolled: 2-line block ×29, first 2 shown]
	s_and_saveexec_b64 s[4:5], vcc
	s_cbranch_execz .LBB0_14
; %bb.13:
	v_add_co_u32_e32 v2, vcc, 0xe000, v2
	v_mov_b32_e32 v132, 0x7c
	s_nop 0
	v_addc_co_u32_e32 v3, vcc, 0, v3, vcc
	global_load_dwordx4 v[2:5], v[2:3], off offset:2656
	s_waitcnt vmcnt(0)
	ds_write_b128 v1, v[2:5] offset:60000
.LBB0_14:
	s_or_b64 exec, exec, s[4:5]
.LBB0_15:
	s_or_b64 exec, exec, s[10:11]
	v_lshlrev_b32_e32 v0, 4, v132
	v_add_u32_e32 v176, 0, v0
	s_waitcnt lgkmcnt(0)
	s_barrier
	v_sub_u32_e32 v26, 0, v0
	ds_read_b64 v[2:3], v176
	ds_read_b64 v[8:9], v26 offset:60000
	s_add_u32 s4, s8, 0xea30
	s_addc_u32 s5, s9, 0
	v_cmp_ne_u32_e32 vcc, 0, v132
                                        ; implicit-def: $vgpr0_vgpr1
	s_waitcnt lgkmcnt(0)
	v_add_f64 v[4:5], v[2:3], v[8:9]
	v_add_f64 v[6:7], v[2:3], -v[8:9]
	s_and_saveexec_b64 s[10:11], vcc
	s_xor_b64 s[10:11], exec, s[10:11]
	s_cbranch_execz .LBB0_17
; %bb.16:
	v_mov_b32_e32 v133, 0
	v_lshl_add_u64 v[0:1], v[132:133], 4, s[4:5]
	global_load_dwordx4 v[10:13], v[0:1], off
	ds_read_b64 v[0:1], v26 offset:60008
	ds_read_b64 v[4:5], v176 offset:8
	v_add_f64 v[14:15], v[2:3], v[8:9]
	v_add_f64 v[8:9], v[2:3], -v[8:9]
	s_waitcnt lgkmcnt(0)
	v_add_f64 v[16:17], v[0:1], v[4:5]
	v_add_f64 v[2:3], v[4:5], -v[0:1]
	s_waitcnt vmcnt(0)
	v_fma_f64 v[6:7], v[16:17], v[12:13], v[2:3]
	v_fma_f64 v[0:1], -v[8:9], v[12:13], v[14:15]
	v_fma_f64 v[2:3], v[16:17], v[12:13], -v[2:3]
	v_fma_f64 v[4:5], v[8:9], v[12:13], v[14:15]
	v_fmac_f64_e32 v[0:1], v[16:17], v[10:11]
	v_fmac_f64_e32 v[2:3], v[8:9], v[10:11]
	v_fma_f64 v[4:5], -v[16:17], v[10:11], v[4:5]
	v_fmac_f64_e32 v[6:7], v[8:9], v[10:11]
	ds_write_b128 v26, v[0:3] offset:60000
	v_mov_b64_e32 v[0:1], v[132:133]
.LBB0_17:
	s_andn2_saveexec_b64 s[10:11], s[10:11]
	s_cbranch_execz .LBB0_19
; %bb.18:
	v_mov_b32_e32 v8, 0
	ds_read_b128 v[0:3], v8 offset:30000
	s_waitcnt lgkmcnt(0)
	v_add_f64 v[0:1], v[0:1], v[0:1]
	v_mul_f64 v[2:3], v[2:3], -2.0
	ds_write_b128 v8, v[0:3] offset:30000
	v_mov_b64_e32 v[0:1], 0
.LBB0_19:
	s_or_b64 exec, exec, s[10:11]
	v_lshl_add_u64 v[24:25], v[0:1], 4, s[4:5]
	global_load_dwordx4 v[16:19], v[24:25], off offset:2000
	v_add_u32_e32 v136, 0xfa, v132
	v_mov_b32_e32 v137, 0
	v_lshl_add_u64 v[0:1], v[136:137], 4, s[4:5]
	global_load_dwordx4 v[8:11], v[0:1], off
	v_add_u32_e32 v138, 0x177, v132
	v_mov_b32_e32 v139, v137
	v_lshl_add_u64 v[0:1], v[138:139], 4, s[4:5]
	global_load_dwordx4 v[12:15], v[0:1], off
	s_movk_i32 s4, 0x1000
	v_add_co_u32_e32 v0, vcc, s4, v24
	s_movk_i32 s20, 0x2000
	s_nop 0
	v_addc_co_u32_e32 v1, vcc, 0, v25, vcc
	global_load_dwordx4 v[0:3], v[0:1], off offset:3904
	v_add_co_u32_e32 v32, vcc, s20, v24
	ds_write_b128 v176, v[4:7]
	s_nop 0
	v_addc_co_u32_e32 v33, vcc, 0, v25, vcc
	ds_read_b128 v[20:23], v176 offset:2000
	ds_read_b128 v[28:31], v26 offset:58000
	global_load_dwordx4 v[4:7], v[32:33], off offset:1808
	v_lshl_add_u32 v133, v136, 4, 0
	s_movk_i32 s4, 0x3000
	v_lshl_add_u32 v177, v138, 4, 0
	s_waitcnt lgkmcnt(0)
	v_add_f64 v[34:35], v[20:21], v[28:29]
	v_add_f64 v[36:37], v[30:31], v[22:23]
	v_add_f64 v[38:39], v[20:21], -v[28:29]
	v_add_f64 v[22:23], v[22:23], -v[30:31]
	s_mov_b32 s11, 0xbfebb67a
	v_add_u32_e32 v173, 0x7d, v132
	v_add_u32_e32 v139, 0x1f4, v132
	s_mov_b32 s18, 0xaaab
	v_add_u32_e32 v172, 0x271, v132
	s_mov_b32 s15, 0xbfee6f0e
	s_mov_b32 s12, 0x372fe950
	;; [unrolled: 1-line block ×5, first 2 shown]
	s_waitcnt vmcnt(4)
	v_fma_f64 v[40:41], v[38:39], v[18:19], v[34:35]
	v_fma_f64 v[20:21], v[36:37], v[18:19], v[22:23]
	v_fma_f64 v[28:29], -v[38:39], v[18:19], v[34:35]
	v_fma_f64 v[30:31], v[36:37], v[18:19], -v[22:23]
	v_fma_f64 v[18:19], -v[36:37], v[16:17], v[40:41]
	v_fmac_f64_e32 v[20:21], v[38:39], v[16:17]
	v_fmac_f64_e32 v[28:29], v[36:37], v[16:17]
	;; [unrolled: 1-line block ×3, first 2 shown]
	ds_write_b128 v176, v[18:21] offset:2000
	ds_write_b128 v26, v[28:31] offset:58000
	ds_read_b128 v[16:19], v133
	ds_read_b128 v[28:31], v26 offset:56000
	global_load_dwordx4 v[20:23], v[32:33], off offset:3808
	s_waitcnt lgkmcnt(0)
	v_add_f64 v[32:33], v[16:17], v[28:29]
	v_add_f64 v[34:35], v[30:31], v[18:19]
	v_add_f64 v[36:37], v[16:17], -v[28:29]
	v_add_f64 v[16:17], v[18:19], -v[30:31]
	s_waitcnt vmcnt(4)
	v_fma_f64 v[38:39], v[36:37], v[10:11], v[32:33]
	v_fma_f64 v[18:19], v[34:35], v[10:11], v[16:17]
	v_fma_f64 v[28:29], -v[36:37], v[10:11], v[32:33]
	v_fma_f64 v[30:31], v[34:35], v[10:11], -v[16:17]
	v_fma_f64 v[16:17], -v[34:35], v[8:9], v[38:39]
	v_fmac_f64_e32 v[18:19], v[36:37], v[8:9]
	v_add_co_u32_e32 v32, vcc, s4, v24
	v_fmac_f64_e32 v[28:29], v[34:35], v[8:9]
	v_fmac_f64_e32 v[30:31], v[36:37], v[8:9]
	ds_write_b128 v133, v[16:19]
	ds_write_b128 v26, v[28:31] offset:56000
	v_addc_co_u32_e32 v33, vcc, 0, v25, vcc
	ds_read_b128 v[8:11], v177
	ds_read_b128 v[28:31], v26 offset:54000
	global_load_dwordx4 v[16:19], v[32:33], off offset:1712
	s_movk_i32 s4, 0x4000
	s_waitcnt lgkmcnt(0)
	v_add_f64 v[34:35], v[8:9], v[28:29]
	v_add_f64 v[36:37], v[30:31], v[10:11]
	v_add_f64 v[38:39], v[8:9], -v[28:29]
	v_add_f64 v[8:9], v[10:11], -v[30:31]
	s_waitcnt vmcnt(4)
	v_fma_f64 v[40:41], v[38:39], v[14:15], v[34:35]
	v_fma_f64 v[10:11], v[36:37], v[14:15], v[8:9]
	v_fma_f64 v[28:29], -v[38:39], v[14:15], v[34:35]
	v_fma_f64 v[30:31], v[36:37], v[14:15], -v[8:9]
	v_fma_f64 v[8:9], -v[36:37], v[12:13], v[40:41]
	v_fmac_f64_e32 v[10:11], v[38:39], v[12:13]
	v_fmac_f64_e32 v[28:29], v[36:37], v[12:13]
	;; [unrolled: 1-line block ×3, first 2 shown]
	ds_write_b128 v177, v[8:11]
	ds_write_b128 v26, v[28:31] offset:54000
	ds_read_b128 v[12:15], v176 offset:8000
	ds_read_b128 v[28:31], v26 offset:52000
	global_load_dwordx4 v[8:11], v[32:33], off offset:3712
	s_waitcnt lgkmcnt(0)
	v_add_f64 v[32:33], v[12:13], v[28:29]
	v_add_f64 v[34:35], v[30:31], v[14:15]
	v_add_f64 v[36:37], v[12:13], -v[28:29]
	v_add_f64 v[12:13], v[14:15], -v[30:31]
	s_waitcnt vmcnt(4)
	v_fma_f64 v[38:39], v[36:37], v[2:3], v[32:33]
	v_fma_f64 v[14:15], v[34:35], v[2:3], v[12:13]
	v_fma_f64 v[28:29], -v[36:37], v[2:3], v[32:33]
	v_fma_f64 v[30:31], v[34:35], v[2:3], -v[12:13]
	v_fma_f64 v[12:13], -v[34:35], v[0:1], v[38:39]
	v_fmac_f64_e32 v[14:15], v[36:37], v[0:1]
	v_add_co_u32_e32 v32, vcc, s4, v24
	v_fmac_f64_e32 v[28:29], v[34:35], v[0:1]
	v_fmac_f64_e32 v[30:31], v[36:37], v[0:1]
	ds_write_b128 v176, v[12:15] offset:8000
	ds_write_b128 v26, v[28:31] offset:52000
	v_addc_co_u32_e32 v33, vcc, 0, v25, vcc
	ds_read_b128 v[12:15], v176 offset:10000
	ds_read_b128 v[28:31], v26 offset:50000
	global_load_dwordx4 v[0:3], v[32:33], off offset:1616
	s_movk_i32 s4, 0x5000
	s_waitcnt lgkmcnt(0)
	v_add_f64 v[34:35], v[12:13], v[28:29]
	v_add_f64 v[36:37], v[30:31], v[14:15]
	v_add_f64 v[38:39], v[12:13], -v[28:29]
	v_add_f64 v[12:13], v[14:15], -v[30:31]
	s_waitcnt vmcnt(4)
	v_fma_f64 v[40:41], v[38:39], v[6:7], v[34:35]
	v_fma_f64 v[14:15], v[36:37], v[6:7], v[12:13]
	v_fma_f64 v[28:29], -v[38:39], v[6:7], v[34:35]
	v_fma_f64 v[30:31], v[36:37], v[6:7], -v[12:13]
	v_fma_f64 v[12:13], -v[36:37], v[4:5], v[40:41]
	v_fmac_f64_e32 v[14:15], v[38:39], v[4:5]
	v_fmac_f64_e32 v[28:29], v[36:37], v[4:5]
	;; [unrolled: 1-line block ×3, first 2 shown]
	ds_write_b128 v176, v[12:15] offset:10000
	ds_write_b128 v26, v[28:31] offset:50000
	ds_read_b128 v[4:7], v176 offset:12000
	ds_read_b128 v[12:15], v26 offset:48000
	s_waitcnt lgkmcnt(0)
	v_add_f64 v[28:29], v[4:5], v[12:13]
	v_add_f64 v[30:31], v[14:15], v[6:7]
	v_add_f64 v[12:13], v[4:5], -v[12:13]
	v_add_f64 v[14:15], v[6:7], -v[14:15]
	s_waitcnt vmcnt(3)
	v_fma_f64 v[4:5], v[12:13], v[22:23], v[28:29]
	v_fma_f64 v[6:7], v[30:31], v[22:23], v[14:15]
	v_fma_f64 v[4:5], -v[30:31], v[20:21], v[4:5]
	v_fmac_f64_e32 v[6:7], v[12:13], v[20:21]
	ds_write_b128 v176, v[4:7] offset:12000
	v_fma_f64 v[4:5], -v[12:13], v[22:23], v[28:29]
	v_fma_f64 v[6:7], v[30:31], v[22:23], -v[14:15]
	v_fmac_f64_e32 v[4:5], v[30:31], v[20:21]
	v_fmac_f64_e32 v[6:7], v[12:13], v[20:21]
	ds_write_b128 v26, v[4:7] offset:48000
	ds_read_b128 v[12:15], v176 offset:14000
	ds_read_b128 v[20:23], v26 offset:46000
	global_load_dwordx4 v[4:7], v[32:33], off offset:3616
	s_waitcnt lgkmcnt(0)
	v_add_f64 v[28:29], v[12:13], v[20:21]
	v_add_f64 v[30:31], v[22:23], v[14:15]
	v_add_f64 v[32:33], v[12:13], -v[20:21]
	v_add_f64 v[22:23], v[14:15], -v[22:23]
	s_waitcnt vmcnt(3)
	v_fma_f64 v[12:13], v[32:33], v[18:19], v[28:29]
	v_fma_f64 v[14:15], v[30:31], v[18:19], v[22:23]
	v_fma_f64 v[20:21], -v[32:33], v[18:19], v[28:29]
	v_add_co_u32_e32 v28, vcc, s4, v24
	v_fma_f64 v[12:13], -v[30:31], v[16:17], v[12:13]
	v_fmac_f64_e32 v[14:15], v[32:33], v[16:17]
	v_addc_co_u32_e32 v29, vcc, 0, v25, vcc
	ds_write_b128 v176, v[12:15] offset:14000
	v_fma_f64 v[22:23], v[30:31], v[18:19], -v[22:23]
	global_load_dwordx4 v[12:15], v[28:29], off offset:1520
	v_fmac_f64_e32 v[20:21], v[30:31], v[16:17]
	v_fmac_f64_e32 v[22:23], v[32:33], v[16:17]
	ds_write_b128 v26, v[20:23] offset:46000
	ds_read_b128 v[16:19], v176 offset:16000
	ds_read_b128 v[20:23], v26 offset:44000
	s_movk_i32 s4, 0x6000
	v_add_co_u32_e32 v24, vcc, s4, v24
	s_mov_b32 s4, 0xe8584caa
	s_waitcnt lgkmcnt(0)
	v_add_f64 v[30:31], v[16:17], v[20:21]
	v_add_f64 v[32:33], v[22:23], v[18:19]
	v_add_f64 v[34:35], v[16:17], -v[20:21]
	v_add_f64 v[22:23], v[18:19], -v[22:23]
	s_waitcnt vmcnt(3)
	v_fma_f64 v[16:17], v[34:35], v[10:11], v[30:31]
	v_fma_f64 v[18:19], v[32:33], v[10:11], v[22:23]
	v_fma_f64 v[16:17], -v[32:33], v[8:9], v[16:17]
	v_fmac_f64_e32 v[18:19], v[34:35], v[8:9]
	ds_write_b128 v176, v[16:19] offset:16000
	global_load_dwordx4 v[16:19], v[28:29], off offset:3520
	v_fma_f64 v[20:21], -v[34:35], v[10:11], v[30:31]
	v_fma_f64 v[22:23], v[32:33], v[10:11], -v[22:23]
	v_fmac_f64_e32 v[20:21], v[32:33], v[8:9]
	v_fmac_f64_e32 v[22:23], v[34:35], v[8:9]
	ds_write_b128 v26, v[20:23] offset:44000
	ds_read_b128 v[8:11], v176 offset:18000
	ds_read_b128 v[20:23], v26 offset:42000
	v_addc_co_u32_e32 v25, vcc, 0, v25, vcc
	s_mov_b32 s5, 0x3febb67a
	s_mov_b32 s10, s4
	s_waitcnt lgkmcnt(0)
	v_add_f64 v[28:29], v[8:9], v[20:21]
	v_add_f64 v[30:31], v[22:23], v[10:11]
	v_add_f64 v[32:33], v[8:9], -v[20:21]
	v_add_f64 v[34:35], v[10:11], -v[22:23]
	global_load_dwordx4 v[20:23], v[24:25], off offset:1424
	s_waitcnt vmcnt(4)
	v_fma_f64 v[8:9], v[32:33], v[2:3], v[28:29]
	v_fma_f64 v[10:11], v[30:31], v[2:3], v[34:35]
	v_fma_f64 v[8:9], -v[30:31], v[0:1], v[8:9]
	v_fmac_f64_e32 v[10:11], v[32:33], v[0:1]
	ds_write_b128 v176, v[8:11] offset:18000
	v_fma_f64 v[8:9], -v[32:33], v[2:3], v[28:29]
	v_fma_f64 v[10:11], v[30:31], v[2:3], -v[34:35]
	v_fmac_f64_e32 v[8:9], v[30:31], v[0:1]
	v_fmac_f64_e32 v[10:11], v[32:33], v[0:1]
	ds_write_b128 v26, v[8:11] offset:42000
	ds_read_b128 v[0:3], v176 offset:20000
	ds_read_b128 v[8:11], v26 offset:40000
	s_waitcnt lgkmcnt(0)
	v_add_f64 v[28:29], v[0:1], v[8:9]
	v_add_f64 v[30:31], v[10:11], v[2:3]
	v_add_f64 v[32:33], v[0:1], -v[8:9]
	v_add_f64 v[34:35], v[2:3], -v[10:11]
	global_load_dwordx4 v[0:3], v[24:25], off offset:3424
	s_waitcnt vmcnt(4)
	v_fma_f64 v[8:9], v[32:33], v[6:7], v[28:29]
	v_fma_f64 v[10:11], v[30:31], v[6:7], v[34:35]
	v_fma_f64 v[8:9], -v[30:31], v[4:5], v[8:9]
	v_fmac_f64_e32 v[10:11], v[32:33], v[4:5]
	ds_write_b128 v176, v[8:11] offset:20000
	v_fma_f64 v[8:9], -v[32:33], v[6:7], v[28:29]
	v_fma_f64 v[10:11], v[30:31], v[6:7], -v[34:35]
	v_fmac_f64_e32 v[8:9], v[30:31], v[4:5]
	v_fmac_f64_e32 v[10:11], v[32:33], v[4:5]
	ds_write_b128 v26, v[8:11] offset:40000
	ds_read_b128 v[4:7], v176 offset:22000
	ds_read_b128 v[8:11], v26 offset:38000
	s_waitcnt lgkmcnt(0)
	v_add_f64 v[24:25], v[4:5], v[8:9]
	v_add_f64 v[28:29], v[10:11], v[6:7]
	v_add_f64 v[8:9], v[4:5], -v[8:9]
	v_add_f64 v[10:11], v[6:7], -v[10:11]
	s_waitcnt vmcnt(3)
	v_fma_f64 v[4:5], v[8:9], v[14:15], v[24:25]
	v_fma_f64 v[6:7], v[28:29], v[14:15], v[10:11]
	v_fma_f64 v[4:5], -v[28:29], v[12:13], v[4:5]
	v_fmac_f64_e32 v[6:7], v[8:9], v[12:13]
	ds_write_b128 v176, v[4:7] offset:22000
	v_fma_f64 v[4:5], -v[8:9], v[14:15], v[24:25]
	v_fma_f64 v[6:7], v[28:29], v[14:15], -v[10:11]
	v_fmac_f64_e32 v[4:5], v[28:29], v[12:13]
	v_fmac_f64_e32 v[6:7], v[8:9], v[12:13]
	ds_write_b128 v26, v[4:7] offset:38000
	ds_read_b128 v[4:7], v176 offset:24000
	ds_read_b128 v[8:11], v26 offset:36000
	s_waitcnt lgkmcnt(0)
	v_add_f64 v[12:13], v[4:5], v[8:9]
	v_add_f64 v[14:15], v[10:11], v[6:7]
	v_add_f64 v[8:9], v[4:5], -v[8:9]
	v_add_f64 v[10:11], v[6:7], -v[10:11]
	;; [unrolled: 18-line block ×4, first 2 shown]
	s_waitcnt vmcnt(0)
	v_fma_f64 v[4:5], v[8:9], v[2:3], v[12:13]
	v_fma_f64 v[6:7], v[14:15], v[2:3], v[10:11]
	v_fma_f64 v[4:5], -v[14:15], v[0:1], v[4:5]
	v_fmac_f64_e32 v[6:7], v[8:9], v[0:1]
	ds_write_b128 v176, v[4:7] offset:28000
	v_fma_f64 v[4:5], -v[8:9], v[2:3], v[12:13]
	v_fma_f64 v[6:7], v[14:15], v[2:3], -v[10:11]
	v_fmac_f64_e32 v[4:5], v[14:15], v[0:1]
	v_fmac_f64_e32 v[6:7], v[8:9], v[0:1]
	ds_write_b128 v26, v[4:7] offset:32000
	s_waitcnt lgkmcnt(0)
	s_barrier
	s_barrier
	ds_read_b128 v[36:39], v176
	ds_read_b128 v[72:75], v176 offset:20000
	ds_read_b128 v[108:111], v176 offset:40000
	;; [unrolled: 1-line block ×29, first 2 shown]
	s_waitcnt lgkmcnt(14)
	v_add_f64 v[76:77], v[36:37], v[72:73]
	v_add_f64 v[96:97], v[76:77], v[108:109]
	;; [unrolled: 1-line block ×3, first 2 shown]
	v_fmac_f64_e32 v[36:37], -0.5, v[76:77]
	v_add_f64 v[78:79], v[74:75], -v[110:111]
	v_fma_f64 v[76:77], s[4:5], v[78:79], v[36:37]
	v_fmac_f64_e32 v[36:37], s[10:11], v[78:79]
	v_add_f64 v[78:79], v[38:39], v[74:75]
	v_add_f64 v[74:75], v[74:75], v[110:111]
	v_fmac_f64_e32 v[38:39], -0.5, v[74:75]
	v_add_f64 v[72:73], v[72:73], -v[108:109]
	v_add_f64 v[98:99], v[78:79], v[110:111]
	v_fma_f64 v[78:79], s[10:11], v[72:73], v[38:39]
	v_fmac_f64_e32 v[38:39], s[4:5], v[72:73]
	v_add_f64 v[72:73], v[28:29], v[80:81]
	v_add_f64 v[108:109], v[72:73], v[84:85]
	v_add_f64 v[72:73], v[80:81], v[84:85]
	v_fmac_f64_e32 v[28:29], -0.5, v[72:73]
	v_add_f64 v[74:75], v[82:83], -v[86:87]
	v_fma_f64 v[72:73], s[4:5], v[74:75], v[28:29]
	v_fmac_f64_e32 v[28:29], s[10:11], v[74:75]
	v_add_f64 v[74:75], v[30:31], v[82:83]
	v_add_f64 v[110:111], v[74:75], v[86:87]
	v_add_f64 v[74:75], v[82:83], v[86:87]
	v_fmac_f64_e32 v[30:31], -0.5, v[74:75]
	v_add_f64 v[80:81], v[80:81], -v[84:85]
	;; [unrolled: 7-line block ×7, first 2 shown]
	v_fma_f64 v[112:113], s[4:5], v[120:121], v[20:21]
	v_fmac_f64_e32 v[20:21], s[10:11], v[120:121]
	v_add_f64 v[120:121], v[22:23], v[116:117]
	v_add_f64 v[116:117], v[116:117], v[124:125]
	v_fmac_f64_e32 v[22:23], -0.5, v[116:117]
	v_add_f64 v[116:117], v[114:115], -v[122:123]
	v_fma_f64 v[114:115], s[10:11], v[116:117], v[22:23]
	v_fmac_f64_e32 v[22:23], s[4:5], v[116:117]
	s_waitcnt lgkmcnt(12)
	v_add_f64 v[116:117], v[16:17], v[88:89]
	s_waitcnt lgkmcnt(10)
	v_add_f64 v[126:127], v[116:117], v[92:93]
	v_add_f64 v[116:117], v[88:89], v[92:93]
	v_fmac_f64_e32 v[16:17], -0.5, v[116:117]
	v_add_f64 v[116:117], v[90:91], -v[94:95]
	v_fma_f64 v[122:123], s[4:5], v[116:117], v[16:17]
	v_fmac_f64_e32 v[16:17], s[10:11], v[116:117]
	v_add_f64 v[116:117], v[18:19], v[90:91]
	v_add_f64 v[90:91], v[90:91], v[94:95]
	v_fmac_f64_e32 v[18:19], -0.5, v[90:91]
	v_add_f64 v[88:89], v[88:89], -v[92:93]
	v_add_f64 v[120:121], v[120:121], v[124:125]
	v_fma_f64 v[124:125], s[10:11], v[88:89], v[18:19]
	v_fmac_f64_e32 v[18:19], s[4:5], v[88:89]
	v_add_f64 v[88:89], v[12:13], v[64:65]
	s_waitcnt lgkmcnt(9)
	v_add_f64 v[92:93], v[88:89], v[68:69]
	v_add_f64 v[88:89], v[64:65], v[68:69]
	v_fmac_f64_e32 v[12:13], -0.5, v[88:89]
	v_add_f64 v[90:91], v[66:67], -v[70:71]
	v_fma_f64 v[88:89], s[4:5], v[90:91], v[12:13]
	v_fmac_f64_e32 v[12:13], s[10:11], v[90:91]
	v_add_f64 v[90:91], v[14:15], v[66:67]
	v_add_f64 v[66:67], v[66:67], v[70:71]
	v_fmac_f64_e32 v[14:15], -0.5, v[66:67]
	v_add_f64 v[64:65], v[64:65], -v[68:69]
	v_add_f64 v[128:129], v[116:117], v[94:95]
	v_add_f64 v[94:95], v[90:91], v[70:71]
	v_fma_f64 v[90:91], s[10:11], v[64:65], v[14:15]
	v_fmac_f64_e32 v[14:15], s[4:5], v[64:65]
	s_waitcnt lgkmcnt(6)
	v_add_f64 v[64:65], v[8:9], v[56:57]
	s_waitcnt lgkmcnt(4)
	v_add_f64 v[68:69], v[64:65], v[60:61]
	v_add_f64 v[64:65], v[56:57], v[60:61]
	v_fmac_f64_e32 v[8:9], -0.5, v[64:65]
	v_add_f64 v[66:67], v[58:59], -v[62:63]
	v_fma_f64 v[64:65], s[4:5], v[66:67], v[8:9]
	v_fmac_f64_e32 v[8:9], s[10:11], v[66:67]
	v_add_f64 v[66:67], v[10:11], v[58:59]
	v_add_f64 v[58:59], v[58:59], v[62:63]
	v_fmac_f64_e32 v[10:11], -0.5, v[58:59]
	v_add_f64 v[56:57], v[56:57], -v[60:61]
	v_add_f64 v[70:71], v[66:67], v[62:63]
	v_fma_f64 v[66:67], s[10:11], v[56:57], v[10:11]
	v_fmac_f64_e32 v[10:11], s[4:5], v[56:57]
	v_add_f64 v[56:57], v[4:5], v[48:49]
	s_waitcnt lgkmcnt(3)
	v_add_f64 v[60:61], v[56:57], v[52:53]
	v_add_f64 v[56:57], v[48:49], v[52:53]
	v_fmac_f64_e32 v[4:5], -0.5, v[56:57]
	v_add_f64 v[58:59], v[50:51], -v[54:55]
	v_fma_f64 v[56:57], s[4:5], v[58:59], v[4:5]
	v_fmac_f64_e32 v[4:5], s[10:11], v[58:59]
	v_add_f64 v[58:59], v[6:7], v[50:51]
	v_add_f64 v[50:51], v[50:51], v[54:55]
	v_fmac_f64_e32 v[6:7], -0.5, v[50:51]
	v_add_f64 v[48:49], v[48:49], -v[52:53]
	s_waitcnt lgkmcnt(0)
	v_add_f64 v[50:51], v[40:41], v[44:45]
	v_add_f64 v[62:63], v[58:59], v[54:55]
	v_fma_f64 v[58:59], s[10:11], v[48:49], v[6:7]
	v_fmac_f64_e32 v[6:7], s[4:5], v[48:49]
	v_add_f64 v[48:49], v[0:1], v[40:41]
	v_fmac_f64_e32 v[0:1], -0.5, v[50:51]
	v_add_f64 v[52:53], v[42:43], -v[46:47]
	v_fma_f64 v[50:51], s[4:5], v[52:53], v[0:1]
	v_fmac_f64_e32 v[0:1], s[10:11], v[52:53]
	v_add_f64 v[52:53], v[2:3], v[42:43]
	v_add_f64 v[42:43], v[42:43], v[46:47]
	v_fmac_f64_e32 v[2:3], -0.5, v[42:43]
	v_add_f64 v[42:43], v[40:41], -v[44:45]
	v_fma_f64 v[40:41], s[10:11], v[42:43], v[2:3]
	v_fmac_f64_e32 v[2:3], s[4:5], v[42:43]
	v_mad_u32_u24 v42, v132, 48, 0
	s_barrier
	ds_write_b128 v42, v[96:99]
	ds_write_b128 v42, v[76:79] offset:16
	ds_write_b128 v42, v[36:39] offset:32
	;; [unrolled: 1-line block ×5, first 2 shown]
	v_mad_u32_u24 v28, v136, 48, 0
	ds_write_b128 v28, v[84:87]
	ds_write_b128 v28, v[80:83] offset:16
	ds_write_b128 v28, v[32:35] offset:32
	v_mad_u32_u24 v28, v138, 48, 0
	v_add_f64 v[48:49], v[48:49], v[44:45]
	v_add_f64 v[52:53], v[52:53], v[46:47]
	ds_write_b128 v28, v[104:107]
	ds_write_b128 v28, v[100:103] offset:16
	ds_write_b128 v28, v[24:27] offset:32
	;; [unrolled: 1-line block ×17, first 2 shown]
	ds_write_b64 v42, v[48:49] offset:54000
	v_add_u32_e32 v4, 0xd2f8, v42
	ds_write2_b64 v4, v[52:53], v[50:51] offset1:1
	v_add_u32_e32 v4, 0xd308, v42
	s_movk_i32 s4, 0xab
	ds_write2_b64 v4, v[40:41], v[0:1] offset1:1
	ds_write_b64 v42, v[2:3] offset:54040
	v_mul_lo_u16_sdwa v0, v132, s4 dst_sel:DWORD dst_unused:UNUSED_PAD src0_sel:BYTE_0 src1_sel:DWORD
	v_lshrrev_b16_e32 v116, 9, v0
	v_mul_lo_u16_e32 v0, 3, v116
	v_sub_u16_e32 v117, v132, v0
	v_mov_b32_e32 v120, 6
	v_lshlrev_b32_sdwa v0, v120, v117 dst_sel:DWORD dst_unused:UNUSED_PAD src0_sel:DWORD src1_sel:BYTE_0
	s_waitcnt lgkmcnt(0)
	s_barrier
	global_load_dwordx4 v[24:27], v0, s[8:9]
	global_load_dwordx4 v[20:23], v0, s[8:9] offset:16
	global_load_dwordx4 v[16:19], v0, s[8:9] offset:32
	;; [unrolled: 1-line block ×3, first 2 shown]
	v_mul_lo_u16_sdwa v0, v173, s4 dst_sel:DWORD dst_unused:UNUSED_PAD src0_sel:BYTE_0 src1_sel:DWORD
	v_lshrrev_b16_e32 v118, 9, v0
	v_mul_lo_u16_e32 v0, 3, v118
	v_sub_u16_e32 v119, v173, v0
	v_lshlrev_b32_sdwa v0, v120, v119 dst_sel:DWORD dst_unused:UNUSED_PAD src0_sel:DWORD src1_sel:BYTE_0
	global_load_dwordx4 v[40:43], v0, s[8:9]
	global_load_dwordx4 v[36:39], v0, s[8:9] offset:16
	global_load_dwordx4 v[28:31], v0, s[8:9] offset:48
	global_load_dwordx4 v[32:35], v0, s[8:9] offset:32
	v_mul_u32_u24_sdwa v0, v139, s18 dst_sel:DWORD dst_unused:UNUSED_PAD src0_sel:WORD_0 src1_sel:DWORD
	v_lshrrev_b32_e32 v121, 17, v0
	v_mul_lo_u16_e32 v0, 3, v121
	v_sub_u16_e32 v122, v139, v0
	v_lshlrev_b32_e32 v0, 6, v122
	global_load_dwordx4 v[44:47], v0, s[8:9]
	global_load_dwordx4 v[58:61], v0, s[8:9] offset:16
	global_load_dwordx4 v[88:91], v0, s[8:9] offset:32
	;; [unrolled: 1-line block ×3, first 2 shown]
	v_mul_u32_u24_sdwa v0, v172, s18 dst_sel:DWORD dst_unused:UNUSED_PAD src0_sel:WORD_0 src1_sel:DWORD
	v_lshrrev_b32_e32 v123, 17, v0
	v_mul_lo_u16_e32 v0, 3, v123
	v_sub_u16_e32 v124, v172, v0
	v_lshlrev_b32_e32 v0, 6, v124
	global_load_dwordx4 v[98:101], v0, s[8:9]
	global_load_dwordx4 v[108:111], v0, s[8:9] offset:16
	ds_read_b128 v[48:51], v176 offset:12000
	global_load_dwordx4 v[126:129], v0, s[8:9] offset:48
	global_load_dwordx4 v[140:143], v0, s[8:9] offset:32
	ds_read_b128 v[52:55], v176 offset:14000
	ds_read_b128 v[84:87], v176 offset:16000
	;; [unrolled: 1-line block ×16, first 2 shown]
	s_mov_b32 s10, 0x134454ff
	s_mov_b32 s11, 0x3fee6f0e
	;; [unrolled: 1-line block ×6, first 2 shown]
	s_waitcnt vmcnt(15) lgkmcnt(14)
	v_mul_f64 v[56:57], v[50:51], v[26:27]
	v_fma_f64 v[164:165], v[48:49], v[24:25], -v[56:57]
	v_mul_f64 v[166:167], v[48:49], v[26:27]
	s_waitcnt vmcnt(14) lgkmcnt(1)
	v_mul_f64 v[48:49], v[154:155], v[22:23]
	v_fma_f64 v[168:169], v[152:153], v[20:21], -v[48:49]
	v_mul_f64 v[152:153], v[152:153], v[22:23]
	v_fmac_f64_e32 v[166:167], v[50:51], v[24:25]
	ds_read_b128 v[24:27], v176 offset:36000
	ds_read_b128 v[160:163], v176 offset:34000
	v_fmac_f64_e32 v[152:153], v[154:155], v[20:21]
	ds_read_b128 v[20:23], v176 offset:48000
	s_waitcnt vmcnt(10)
	v_mul_f64 v[50:51], v[62:63], v[38:39]
	s_waitcnt lgkmcnt(2)
	v_mul_f64 v[48:49], v[26:27], v[18:19]
	v_mul_f64 v[170:171], v[24:25], v[18:19]
	v_fma_f64 v[154:155], v[24:25], v[16:17], -v[48:49]
	v_fmac_f64_e32 v[170:171], v[26:27], v[16:17]
	ds_read_b128 v[16:19], v176 offset:46000
	s_waitcnt lgkmcnt(1)
	v_mul_f64 v[24:25], v[22:23], v[14:15]
	v_fma_f64 v[174:175], v[20:21], v[12:13], -v[24:25]
	v_mul_f64 v[178:179], v[20:21], v[14:15]
	v_mul_f64 v[20:21], v[54:55], v[42:43]
	v_fma_f64 v[180:181], v[52:53], v[40:41], -v[20:21]
	v_mul_f64 v[20:21], v[64:65], v[38:39]
	v_fmac_f64_e32 v[178:179], v[22:23], v[12:13]
	ds_read_b128 v[12:15], v176 offset:56000
	v_mul_f64 v[48:49], v[52:53], v[42:43]
	v_fma_f64 v[182:183], v[62:63], v[36:37], -v[20:21]
	v_fmac_f64_e32 v[50:51], v[64:65], v[36:37]
	s_waitcnt vmcnt(8)
	v_mul_f64 v[36:37], v[68:69], v[34:35]
	v_mul_f64 v[52:53], v[66:67], v[34:35]
	v_fma_f64 v[184:185], v[66:67], v[32:33], -v[36:37]
	v_fmac_f64_e32 v[52:53], v[68:69], v[32:33]
	v_mul_f64 v[32:33], v[104:105], v[30:31]
	v_mul_f64 v[56:57], v[102:103], v[30:31]
	v_fma_f64 v[186:187], v[102:103], v[28:29], -v[32:33]
	v_fmac_f64_e32 v[56:57], v[104:105], v[28:29]
	s_waitcnt vmcnt(7)
	v_mul_f64 v[28:29], v[114:115], v[46:47]
	v_fmac_f64_e32 v[48:49], v[54:55], v[40:41]
	v_fma_f64 v[54:55], v[112:113], v[44:45], -v[28:29]
	s_waitcnt vmcnt(6)
	v_mul_f64 v[28:29], v[146:147], v[60:61]
	ds_read_b128 v[20:23], v176
	ds_read_b128 v[24:27], v176 offset:58000
	v_fma_f64 v[62:63], v[144:145], v[58:59], -v[28:29]
	s_waitcnt vmcnt(5)
	v_mul_f64 v[28:29], v[150:151], v[90:91]
	v_mul_f64 v[64:65], v[112:113], v[46:47]
	v_fma_f64 v[112:113], v[148:149], v[88:89], -v[28:29]
	s_waitcnt vmcnt(4) lgkmcnt(2)
	v_mul_f64 v[28:29], v[14:15], v[94:95]
	v_fmac_f64_e32 v[64:65], v[114:115], v[44:45]
	v_fma_f64 v[114:115], v[12:13], v[92:93], -v[28:29]
	v_mul_f64 v[78:79], v[12:13], v[94:95]
	s_waitcnt vmcnt(3)
	v_mul_f64 v[12:13], v[158:159], v[100:101]
	v_fma_f64 v[104:105], v[156:157], v[98:99], -v[12:13]
	v_mul_f64 v[96:97], v[156:157], v[100:101]
	s_waitcnt vmcnt(2)
	v_mul_f64 v[12:13], v[162:163], v[110:111]
	v_fmac_f64_e32 v[96:97], v[158:159], v[98:99]
	v_fma_f64 v[106:107], v[160:161], v[108:109], -v[12:13]
	v_mul_f64 v[98:99], v[160:161], v[110:111]
	s_waitcnt vmcnt(0)
	v_mul_f64 v[12:13], v[18:19], v[142:143]
	v_fmac_f64_e32 v[98:99], v[162:163], v[108:109]
	v_fma_f64 v[108:109], v[16:17], v[140:141], -v[12:13]
	s_waitcnt lgkmcnt(0)
	v_mul_f64 v[12:13], v[26:27], v[128:129]
	v_fma_f64 v[110:111], v[24:25], v[126:127], -v[12:13]
	v_add_f64 v[12:13], v[20:21], v[164:165]
	v_add_f64 v[12:13], v[12:13], v[168:169]
	;; [unrolled: 1-line block ×5, first 2 shown]
	v_mul_f64 v[100:101], v[16:17], v[142:143]
	v_fma_f64 v[28:29], -0.5, v[12:13], v[20:21]
	v_add_f64 v[12:13], v[166:167], -v[178:179]
	v_fmac_f64_e32 v[78:79], v[14:15], v[92:93]
	v_fmac_f64_e32 v[100:101], v[18:19], v[140:141]
	v_fma_f64 v[40:41], s[10:11], v[12:13], v[28:29]
	v_add_f64 v[14:15], v[152:153], -v[170:171]
	v_add_f64 v[16:17], v[164:165], -v[168:169]
	;; [unrolled: 1-line block ×3, first 2 shown]
	v_fmac_f64_e32 v[28:29], s[14:15], v[12:13]
	v_fmac_f64_e32 v[40:41], s[4:5], v[14:15]
	v_add_f64 v[16:17], v[16:17], v[18:19]
	v_fmac_f64_e32 v[28:29], s[16:17], v[14:15]
	v_fmac_f64_e32 v[40:41], s[12:13], v[16:17]
	;; [unrolled: 1-line block ×3, first 2 shown]
	v_add_f64 v[16:17], v[164:165], v[174:175]
	v_fmac_f64_e32 v[20:21], -0.5, v[16:17]
	v_fma_f64 v[36:37], s[14:15], v[14:15], v[20:21]
	v_fmac_f64_e32 v[20:21], s[10:11], v[14:15]
	v_fmac_f64_e32 v[36:37], s[4:5], v[12:13]
	;; [unrolled: 1-line block ×3, first 2 shown]
	v_add_f64 v[12:13], v[22:23], v[166:167]
	v_add_f64 v[12:13], v[12:13], v[152:153]
	;; [unrolled: 1-line block ×3, first 2 shown]
	v_add_f64 v[16:17], v[168:169], -v[164:165]
	v_add_f64 v[18:19], v[154:155], -v[174:175]
	v_add_f64 v[46:47], v[12:13], v[178:179]
	v_add_f64 v[12:13], v[152:153], v[170:171]
	;; [unrolled: 1-line block ×3, first 2 shown]
	v_fma_f64 v[30:31], -0.5, v[12:13], v[22:23]
	v_add_f64 v[12:13], v[164:165], -v[174:175]
	v_fmac_f64_e32 v[36:37], s[12:13], v[16:17]
	v_fmac_f64_e32 v[20:21], s[12:13], v[16:17]
	v_fma_f64 v[42:43], s[14:15], v[12:13], v[30:31]
	v_add_f64 v[14:15], v[168:169], -v[154:155]
	v_add_f64 v[16:17], v[166:167], -v[152:153]
	;; [unrolled: 1-line block ×3, first 2 shown]
	v_fmac_f64_e32 v[30:31], s[10:11], v[12:13]
	v_fmac_f64_e32 v[42:43], s[16:17], v[14:15]
	v_add_f64 v[16:17], v[16:17], v[18:19]
	v_fmac_f64_e32 v[30:31], s[4:5], v[14:15]
	v_fmac_f64_e32 v[42:43], s[12:13], v[16:17]
	;; [unrolled: 1-line block ×3, first 2 shown]
	v_add_f64 v[16:17], v[166:167], v[178:179]
	v_fmac_f64_e32 v[22:23], -0.5, v[16:17]
	v_fma_f64 v[38:39], s[10:11], v[14:15], v[22:23]
	v_fmac_f64_e32 v[22:23], s[14:15], v[14:15]
	v_fmac_f64_e32 v[38:39], s[16:17], v[12:13]
	;; [unrolled: 1-line block ×3, first 2 shown]
	v_add_f64 v[12:13], v[8:9], v[180:181]
	v_add_f64 v[12:13], v[12:13], v[182:183]
	;; [unrolled: 1-line block ×3, first 2 shown]
	v_add_f64 v[16:17], v[152:153], -v[166:167]
	v_add_f64 v[18:19], v[170:171], -v[178:179]
	v_add_f64 v[32:33], v[12:13], v[186:187]
	v_add_f64 v[12:13], v[182:183], v[184:185]
	v_mul_f64 v[102:103], v[24:25], v[128:129]
	v_add_f64 v[16:17], v[16:17], v[18:19]
	v_fma_f64 v[12:13], -0.5, v[12:13], v[8:9]
	v_add_f64 v[14:15], v[48:49], -v[56:57]
	v_fmac_f64_e32 v[102:103], v[26:27], v[126:127]
	v_fmac_f64_e32 v[38:39], s[12:13], v[16:17]
	;; [unrolled: 1-line block ×3, first 2 shown]
	v_fma_f64 v[24:25], s[10:11], v[14:15], v[12:13]
	v_add_f64 v[18:19], v[50:51], -v[52:53]
	v_add_f64 v[16:17], v[180:181], -v[182:183]
	;; [unrolled: 1-line block ×3, first 2 shown]
	v_fmac_f64_e32 v[12:13], s[14:15], v[14:15]
	v_fmac_f64_e32 v[24:25], s[4:5], v[18:19]
	v_add_f64 v[16:17], v[16:17], v[26:27]
	v_fmac_f64_e32 v[12:13], s[16:17], v[18:19]
	v_fmac_f64_e32 v[24:25], s[12:13], v[16:17]
	;; [unrolled: 1-line block ×3, first 2 shown]
	v_add_f64 v[16:17], v[180:181], v[186:187]
	v_mul_f64 v[68:69], v[148:149], v[90:91]
	v_fmac_f64_e32 v[8:9], -0.5, v[16:17]
	v_fmac_f64_e32 v[68:69], v[150:151], v[88:89]
	v_fma_f64 v[16:17], s[14:15], v[18:19], v[8:9]
	v_fmac_f64_e32 v[8:9], s[10:11], v[18:19]
	v_add_f64 v[18:19], v[48:49], -v[50:51]
	v_add_f64 v[88:89], v[56:57], -v[52:53]
	v_add_f64 v[18:19], v[18:19], v[88:89]
	v_mul_u32_u24_sdwa v88, v136, s18 dst_sel:DWORD dst_unused:UNUSED_PAD src0_sel:WORD_0 src1_sel:DWORD
	v_lshrrev_b32_e32 v126, 17, v88
	v_mul_lo_u16_e32 v88, 3, v126
	v_sub_u16_e32 v125, v136, v88
	v_lshlrev_b32_e32 v127, 6, v125
	global_load_dwordx4 v[92:95], v127, s[8:9] offset:16
	global_load_dwordx4 v[140:143], v127, s[8:9]
	v_fmac_f64_e32 v[16:17], s[4:5], v[14:15]
	v_fmac_f64_e32 v[8:9], s[16:17], v[14:15]
	v_add_f64 v[14:15], v[10:11], v[48:49]
	v_add_f64 v[14:15], v[14:15], v[50:51]
	v_add_f64 v[26:27], v[182:183], -v[180:181]
	v_add_f64 v[34:35], v[184:185], -v[186:187]
	v_add_f64 v[14:15], v[14:15], v[52:53]
	v_mul_f64 v[66:67], v[144:145], v[60:61]
	v_add_f64 v[26:27], v[26:27], v[34:35]
	v_add_f64 v[34:35], v[14:15], v[56:57]
	;; [unrolled: 1-line block ×3, first 2 shown]
	v_fmac_f64_e32 v[66:67], v[146:147], v[58:59]
	v_fma_f64 v[14:15], -0.5, v[14:15], v[10:11]
	v_add_f64 v[58:59], v[180:181], -v[186:187]
	v_fmac_f64_e32 v[16:17], s[12:13], v[26:27]
	v_fmac_f64_e32 v[8:9], s[12:13], v[26:27]
	v_fma_f64 v[26:27], s[14:15], v[58:59], v[14:15]
	v_add_f64 v[60:61], v[182:183], -v[184:185]
	v_fmac_f64_e32 v[14:15], s[10:11], v[58:59]
	v_fmac_f64_e32 v[26:27], s[16:17], v[60:61]
	;; [unrolled: 1-line block ×5, first 2 shown]
	v_add_f64 v[18:19], v[48:49], v[56:57]
	v_fmac_f64_e32 v[10:11], -0.5, v[18:19]
	v_fma_f64 v[18:19], s[10:11], v[60:61], v[10:11]
	v_add_f64 v[48:49], v[50:51], -v[48:49]
	v_add_f64 v[50:51], v[52:53], -v[56:57]
	v_fmac_f64_e32 v[10:11], s[14:15], v[60:61]
	v_fmac_f64_e32 v[18:19], s[16:17], v[58:59]
	v_add_f64 v[48:49], v[48:49], v[50:51]
	v_fmac_f64_e32 v[10:11], s[4:5], v[58:59]
	v_fmac_f64_e32 v[18:19], s[12:13], v[48:49]
	;; [unrolled: 1-line block ×3, first 2 shown]
	v_add_f64 v[48:49], v[4:5], v[54:55]
	v_add_f64 v[48:49], v[48:49], v[62:63]
	;; [unrolled: 1-line block ×5, first 2 shown]
	v_fma_f64 v[48:49], -0.5, v[48:49], v[4:5]
	v_add_f64 v[50:51], v[64:65], -v[78:79]
	v_fma_f64 v[52:53], s[10:11], v[50:51], v[48:49]
	v_add_f64 v[58:59], v[66:67], -v[68:69]
	v_add_f64 v[60:61], v[54:55], -v[62:63]
	;; [unrolled: 1-line block ×3, first 2 shown]
	v_fmac_f64_e32 v[48:49], s[14:15], v[50:51]
	v_fmac_f64_e32 v[52:53], s[4:5], v[58:59]
	v_add_f64 v[60:61], v[60:61], v[128:129]
	v_fmac_f64_e32 v[48:49], s[16:17], v[58:59]
	v_fmac_f64_e32 v[52:53], s[12:13], v[60:61]
	;; [unrolled: 1-line block ×3, first 2 shown]
	v_add_f64 v[60:61], v[54:55], v[114:115]
	v_fmac_f64_e32 v[4:5], -0.5, v[60:61]
	v_fma_f64 v[60:61], s[14:15], v[58:59], v[4:5]
	v_fmac_f64_e32 v[4:5], s[10:11], v[58:59]
	v_fmac_f64_e32 v[60:61], s[4:5], v[50:51]
	;; [unrolled: 1-line block ×3, first 2 shown]
	v_add_f64 v[50:51], v[6:7], v[64:65]
	v_add_f64 v[50:51], v[50:51], v[66:67]
	;; [unrolled: 1-line block ×3, first 2 shown]
	global_load_dwordx4 v[88:91], v127, s[8:9] offset:48
	global_load_dwordx4 v[144:147], v127, s[8:9] offset:32
	v_add_f64 v[128:129], v[62:63], -v[54:55]
	v_add_f64 v[148:149], v[112:113], -v[114:115]
	v_add_f64 v[58:59], v[50:51], v[78:79]
	v_add_f64 v[50:51], v[66:67], v[68:69]
	;; [unrolled: 1-line block ×3, first 2 shown]
	v_fma_f64 v[50:51], -0.5, v[50:51], v[6:7]
	v_add_f64 v[114:115], v[54:55], -v[114:115]
	v_fmac_f64_e32 v[60:61], s[12:13], v[128:129]
	v_fmac_f64_e32 v[4:5], s[12:13], v[128:129]
	v_fma_f64 v[54:55], s[14:15], v[114:115], v[50:51]
	v_add_f64 v[112:113], v[62:63], -v[112:113]
	v_add_f64 v[62:63], v[64:65], -v[66:67]
	;; [unrolled: 1-line block ×3, first 2 shown]
	v_fmac_f64_e32 v[50:51], s[10:11], v[114:115]
	v_fmac_f64_e32 v[54:55], s[16:17], v[112:113]
	v_add_f64 v[62:63], v[62:63], v[128:129]
	v_fmac_f64_e32 v[50:51], s[4:5], v[112:113]
	v_fmac_f64_e32 v[54:55], s[12:13], v[62:63]
	v_fmac_f64_e32 v[50:51], s[12:13], v[62:63]
	v_add_f64 v[62:63], v[64:65], v[78:79]
	v_fmac_f64_e32 v[6:7], -0.5, v[62:63]
	v_fma_f64 v[62:63], s[10:11], v[112:113], v[6:7]
	v_fmac_f64_e32 v[6:7], s[14:15], v[112:113]
	s_waitcnt vmcnt(2)
	v_mul_f64 v[112:113], v[86:87], v[142:143]
	v_fma_f64 v[158:159], v[84:85], v[140:141], -v[112:113]
	v_mul_u32_u24_sdwa v112, v138, s18 dst_sel:DWORD dst_unused:UNUSED_PAD src0_sel:WORD_0 src1_sel:DWORD
	v_lshrrev_b32_e32 v128, 17, v112
	v_mul_lo_u16_e32 v112, 3, v128
	v_sub_u16_e32 v127, v138, v112
	v_lshlrev_b32_e32 v129, 6, v127
	v_fmac_f64_e32 v[62:63], s[16:17], v[114:115]
	v_fmac_f64_e32 v[6:7], s[4:5], v[114:115]
	global_load_dwordx4 v[112:115], v129, s[8:9] offset:16
	global_load_dwordx4 v[148:151], v129, s[8:9]
	v_mul_f64 v[160:161], v[84:85], v[142:143]
	v_mul_f64 v[84:85], v[76:77], v[94:95]
	;; [unrolled: 1-line block ×3, first 2 shown]
	v_fma_f64 v[162:163], v[74:75], v[92:93], -v[84:85]
	v_fmac_f64_e32 v[164:165], v[76:77], v[92:93]
	global_load_dwordx4 v[92:95], v129, s[8:9] offset:48
	global_load_dwordx4 v[152:155], v129, s[8:9] offset:32
	v_add_f64 v[64:65], v[66:67], -v[64:65]
	v_add_f64 v[66:67], v[68:69], -v[78:79]
	v_add_f64 v[64:65], v[64:65], v[66:67]
	v_fmac_f64_e32 v[62:63], s[12:13], v[64:65]
	v_fmac_f64_e32 v[6:7], s[12:13], v[64:65]
	v_add_f64 v[64:65], v[106:107], v[108:109]
	v_add_f64 v[66:67], v[0:1], v[104:105]
	v_fma_f64 v[64:65], -0.5, v[64:65], v[0:1]
	v_add_f64 v[78:79], v[96:97], -v[102:103]
	v_fma_f64 v[68:69], s[10:11], v[78:79], v[64:65]
	v_add_f64 v[156:157], v[98:99], -v[100:101]
	v_add_f64 v[74:75], v[104:105], -v[106:107]
	v_add_f64 v[76:77], v[110:111], -v[108:109]
	v_fmac_f64_e32 v[64:65], s[14:15], v[78:79]
	v_add_f64 v[66:67], v[66:67], v[106:107]
	v_fmac_f64_e32 v[68:69], s[4:5], v[156:157]
	v_add_f64 v[74:75], v[74:75], v[76:77]
	;; [unrolled: 2-line block ×3, first 2 shown]
	v_fmac_f64_e32 v[68:69], s[12:13], v[74:75]
	v_fmac_f64_e32 v[64:65], s[12:13], v[74:75]
	v_add_f64 v[74:75], v[104:105], v[110:111]
	v_add_f64 v[76:77], v[66:67], v[110:111]
	;; [unrolled: 1-line block ×3, first 2 shown]
	v_fmac_f64_e32 v[0:1], -0.5, v[74:75]
	v_add_f64 v[66:67], v[66:67], v[98:99]
	v_add_f64 v[66:67], v[66:67], v[100:101]
	v_add_f64 v[84:85], v[104:105], -v[110:111]
	v_fmac_f64_e32 v[160:161], v[86:87], v[140:141]
	v_add_f64 v[86:87], v[106:107], -v[108:109]
	v_mov_b32_e32 v174, 4
	s_movk_i32 s18, 0xf0
	s_waitcnt vmcnt(4)
	v_mul_f64 v[74:75], v[72:73], v[146:147]
	v_mul_f64 v[146:147], v[70:71], v[146:147]
	v_fma_f64 v[166:167], v[70:71], v[144:145], -v[74:75]
	v_fmac_f64_e32 v[146:147], v[72:73], v[144:145]
	v_fma_f64 v[72:73], s[14:15], v[156:157], v[0:1]
	v_add_f64 v[70:71], v[106:107], -v[104:105]
	v_add_f64 v[74:75], v[108:109], -v[110:111]
	v_fmac_f64_e32 v[0:1], s[10:11], v[156:157]
	v_add_f64 v[70:71], v[70:71], v[74:75]
	v_fmac_f64_e32 v[72:73], s[4:5], v[78:79]
	v_fmac_f64_e32 v[0:1], s[16:17], v[78:79]
	v_add_f64 v[78:79], v[66:67], v[102:103]
	v_add_f64 v[66:67], v[98:99], v[100:101]
	v_fmac_f64_e32 v[72:73], s[12:13], v[70:71]
	v_fmac_f64_e32 v[0:1], s[12:13], v[70:71]
	v_fma_f64 v[66:67], -0.5, v[66:67], v[2:3]
	v_add_f64 v[70:71], v[96:97], -v[98:99]
	v_add_f64 v[74:75], v[102:103], -v[100:101]
	v_add_f64 v[74:75], v[70:71], v[74:75]
	v_fma_f64 v[70:71], s[14:15], v[84:85], v[66:67]
	v_fmac_f64_e32 v[66:67], s[10:11], v[84:85]
	v_fmac_f64_e32 v[70:71], s[16:17], v[86:87]
	v_fmac_f64_e32 v[66:67], s[4:5], v[86:87]
	v_fmac_f64_e32 v[70:71], s[12:13], v[74:75]
	v_fmac_f64_e32 v[66:67], s[12:13], v[74:75]
	v_add_f64 v[74:75], v[96:97], v[102:103]
	ds_read_b128 v[142:145], v176 offset:18000
	ds_read_b128 v[104:107], v176 offset:30000
	v_fmac_f64_e32 v[2:3], -0.5, v[74:75]
	v_add_f64 v[74:75], v[98:99], -v[96:97]
	v_add_f64 v[100:101], v[100:101], -v[102:103]
	v_add_f64 v[108:109], v[74:75], v[100:101]
	v_fma_f64 v[74:75], s[10:11], v[86:87], v[2:3]
	v_fmac_f64_e32 v[2:3], s[14:15], v[86:87]
	ds_read_b128 v[96:99], v176 offset:42000
	ds_read_b128 v[100:103], v176 offset:54000
	v_fmac_f64_e32 v[74:75], s[16:17], v[84:85]
	v_fmac_f64_e32 v[2:3], s[4:5], v[84:85]
	v_mul_f64 v[84:85], v[82:83], v[90:91]
	v_mul_f64 v[90:91], v[80:81], v[90:91]
	v_fma_f64 v[110:111], v[80:81], v[88:89], -v[84:85]
	v_fmac_f64_e32 v[90:91], v[82:83], v[88:89]
	v_mul_u32_u24_e32 v88, 0xf0, v116
	v_lshlrev_b32_sdwa v89, v174, v117 dst_sel:DWORD dst_unused:UNUSED_PAD src0_sel:DWORD src1_sel:BYTE_0
	v_add3_u32 v140, 0, v88, v89
	v_mul_u32_u24_e32 v88, 0xf0, v118
	v_lshlrev_b32_sdwa v89, v174, v119 dst_sel:DWORD dst_unused:UNUSED_PAD src0_sel:DWORD src1_sel:BYTE_0
	ds_read_b128 v[84:87], v133
	ds_read_b128 v[80:83], v177
	v_add3_u32 v129, 0, v88, v89
	s_waitcnt vmcnt(2) lgkmcnt(5)
	v_mul_f64 v[88:89], v[144:145], v[150:151]
	v_fma_f64 v[156:157], v[142:143], v[148:149], -v[88:89]
	v_mul_f64 v[142:143], v[142:143], v[150:151]
	s_waitcnt lgkmcnt(4)
	v_mul_f64 v[88:89], v[106:107], v[114:115]
	v_fmac_f64_e32 v[142:143], v[144:145], v[148:149]
	v_fma_f64 v[144:145], v[104:105], v[112:113], -v[88:89]
	s_waitcnt vmcnt(0) lgkmcnt(3)
	v_mul_f64 v[88:89], v[98:99], v[154:155]
	v_mul_f64 v[154:155], v[96:97], v[154:155]
	v_fma_f64 v[150:151], v[96:97], v[152:153], -v[88:89]
	v_fmac_f64_e32 v[154:155], v[98:99], v[152:153]
	s_waitcnt lgkmcnt(2)
	v_mul_f64 v[88:89], v[102:103], v[94:95]
	v_mul_f64 v[152:153], v[100:101], v[94:95]
	v_fma_f64 v[98:99], v[100:101], v[92:93], -v[88:89]
	v_fmac_f64_e32 v[152:153], v[102:103], v[92:93]
	s_waitcnt lgkmcnt(1)
	v_add_f64 v[88:89], v[84:85], v[158:159]
	v_add_f64 v[92:93], v[162:163], v[166:167]
	;; [unrolled: 1-line block ×3, first 2 shown]
	v_fma_f64 v[92:93], -0.5, v[92:93], v[84:85]
	v_add_f64 v[94:95], v[160:161], -v[90:91]
	v_fmac_f64_e32 v[74:75], s[12:13], v[108:109]
	v_fmac_f64_e32 v[2:3], s[12:13], v[108:109]
	v_add_f64 v[88:89], v[88:89], v[166:167]
	v_fma_f64 v[108:109], s[10:11], v[94:95], v[92:93]
	v_add_f64 v[96:97], v[164:165], -v[146:147]
	v_add_f64 v[100:101], v[158:159], -v[162:163]
	;; [unrolled: 1-line block ×3, first 2 shown]
	v_fmac_f64_e32 v[92:93], s[14:15], v[94:95]
	v_fmac_f64_e32 v[108:109], s[4:5], v[96:97]
	v_add_f64 v[100:101], v[100:101], v[102:103]
	v_fmac_f64_e32 v[92:93], s[16:17], v[96:97]
	v_add_f64 v[116:117], v[88:89], v[110:111]
	v_add_f64 v[88:89], v[86:87], v[160:161]
	v_fmac_f64_e32 v[108:109], s[12:13], v[100:101]
	v_fmac_f64_e32 v[92:93], s[12:13], v[100:101]
	v_add_f64 v[100:101], v[158:159], v[110:111]
	v_add_f64 v[88:89], v[88:89], v[164:165]
	v_fmac_f64_e32 v[84:85], -0.5, v[100:101]
	v_add_f64 v[88:89], v[88:89], v[146:147]
	v_mul_f64 v[148:149], v[104:105], v[114:115]
	v_add_f64 v[100:101], v[162:163], -v[158:159]
	v_add_f64 v[102:103], v[166:167], -v[110:111]
	v_fma_f64 v[104:105], s[14:15], v[96:97], v[84:85]
	v_fmac_f64_e32 v[84:85], s[10:11], v[96:97]
	v_add_f64 v[118:119], v[88:89], v[90:91]
	v_add_f64 v[88:89], v[164:165], v[146:147]
	;; [unrolled: 1-line block ×3, first 2 shown]
	v_fmac_f64_e32 v[104:105], s[4:5], v[94:95]
	v_fmac_f64_e32 v[84:85], s[16:17], v[94:95]
	v_fma_f64 v[94:95], -0.5, v[88:89], v[86:87]
	v_add_f64 v[88:89], v[158:159], -v[110:111]
	v_fmac_f64_e32 v[104:105], s[12:13], v[100:101]
	v_fmac_f64_e32 v[84:85], s[12:13], v[100:101]
	v_fma_f64 v[110:111], s[14:15], v[88:89], v[94:95]
	v_add_f64 v[96:97], v[162:163], -v[166:167]
	v_add_f64 v[100:101], v[160:161], -v[164:165]
	;; [unrolled: 1-line block ×3, first 2 shown]
	v_fmac_f64_e32 v[94:95], s[10:11], v[88:89]
	v_fmac_f64_e32 v[110:111], s[16:17], v[96:97]
	v_add_f64 v[100:101], v[100:101], v[102:103]
	v_fmac_f64_e32 v[94:95], s[4:5], v[96:97]
	v_fmac_f64_e32 v[110:111], s[12:13], v[100:101]
	;; [unrolled: 1-line block ×3, first 2 shown]
	v_add_f64 v[100:101], v[160:161], v[90:91]
	v_fmac_f64_e32 v[86:87], -0.5, v[100:101]
	v_fmac_f64_e32 v[148:149], v[106:107], v[112:113]
	v_fma_f64 v[106:107], s[10:11], v[96:97], v[86:87]
	v_fmac_f64_e32 v[86:87], s[14:15], v[96:97]
	v_fmac_f64_e32 v[106:107], s[16:17], v[88:89]
	v_add_f64 v[100:101], v[164:165], -v[160:161]
	v_add_f64 v[90:91], v[146:147], -v[90:91]
	v_fmac_f64_e32 v[86:87], s[4:5], v[88:89]
	s_waitcnt lgkmcnt(0)
	v_add_f64 v[88:89], v[80:81], v[156:157]
	v_add_f64 v[90:91], v[100:101], v[90:91]
	;; [unrolled: 1-line block ×3, first 2 shown]
	v_fmac_f64_e32 v[106:107], s[12:13], v[90:91]
	v_fmac_f64_e32 v[86:87], s[12:13], v[90:91]
	v_add_f64 v[90:91], v[88:89], v[150:151]
	v_add_f64 v[88:89], v[144:145], v[150:151]
	v_fma_f64 v[88:89], -0.5, v[88:89], v[80:81]
	v_add_f64 v[102:103], v[142:143], -v[152:153]
	v_fma_f64 v[100:101], s[10:11], v[102:103], v[88:89]
	v_add_f64 v[112:113], v[148:149], -v[154:155]
	v_add_f64 v[96:97], v[156:157], -v[144:145]
	;; [unrolled: 1-line block ×3, first 2 shown]
	v_fmac_f64_e32 v[88:89], s[14:15], v[102:103]
	v_fmac_f64_e32 v[100:101], s[4:5], v[112:113]
	v_add_f64 v[96:97], v[96:97], v[114:115]
	v_fmac_f64_e32 v[88:89], s[16:17], v[112:113]
	v_fmac_f64_e32 v[100:101], s[12:13], v[96:97]
	;; [unrolled: 1-line block ×3, first 2 shown]
	v_add_f64 v[96:97], v[156:157], v[98:99]
	v_fmac_f64_e32 v[80:81], -0.5, v[96:97]
	v_add_f64 v[96:97], v[144:145], -v[156:157]
	v_add_f64 v[114:115], v[150:151], -v[98:99]
	v_add_f64 v[114:115], v[96:97], v[114:115]
	v_fma_f64 v[96:97], s[14:15], v[112:113], v[80:81]
	v_fmac_f64_e32 v[80:81], s[10:11], v[112:113]
	v_add_f64 v[112:113], v[90:91], v[98:99]
	v_add_f64 v[90:91], v[82:83], v[142:143]
	;; [unrolled: 1-line block ×3, first 2 shown]
	v_fmac_f64_e32 v[96:97], s[4:5], v[102:103]
	v_fmac_f64_e32 v[80:81], s[16:17], v[102:103]
	v_add_f64 v[90:91], v[90:91], v[154:155]
	v_fmac_f64_e32 v[96:97], s[12:13], v[114:115]
	v_fmac_f64_e32 v[80:81], s[12:13], v[114:115]
	v_add_f64 v[114:115], v[90:91], v[152:153]
	v_add_f64 v[90:91], v[148:149], v[154:155]
	v_fma_f64 v[90:91], -0.5, v[90:91], v[82:83]
	v_add_f64 v[146:147], v[156:157], -v[98:99]
	v_fma_f64 v[102:103], s[14:15], v[146:147], v[90:91]
	v_add_f64 v[144:145], v[144:145], -v[150:151]
	v_add_f64 v[98:99], v[142:143], -v[148:149]
	v_add_f64 v[150:151], v[152:153], -v[154:155]
	v_fmac_f64_e32 v[90:91], s[10:11], v[146:147]
	s_barrier
	ds_write_b128 v140, v[44:47]
	ds_write_b128 v140, v[40:43] offset:48
	ds_write_b128 v140, v[36:39] offset:96
	;; [unrolled: 1-line block ×4, first 2 shown]
	ds_write_b128 v129, v[32:35]
	ds_write_b128 v129, v[24:27] offset:48
	ds_write_b128 v129, v[16:19] offset:96
	;; [unrolled: 1-line block ×4, first 2 shown]
	v_perm_b32 v8, v128, v126, s19
	v_fmac_f64_e32 v[102:103], s[16:17], v[144:145]
	v_add_f64 v[98:99], v[98:99], v[150:151]
	v_fmac_f64_e32 v[90:91], s[4:5], v[144:145]
	v_pk_mul_lo_u16 v8, v8, s18 op_sel_hi:[1,0]
	v_fmac_f64_e32 v[102:103], s[12:13], v[98:99]
	v_fmac_f64_e32 v[90:91], s[12:13], v[98:99]
	v_add_f64 v[98:99], v[142:143], v[152:153]
	v_and_b32_e32 v9, 0xfff0, v8
	v_lshlrev_b32_e32 v10, 4, v125
	v_fmac_f64_e32 v[82:83], -0.5, v[98:99]
	v_add3_u32 v9, 0, v9, v10
	v_fma_f64 v[98:99], s[10:11], v[144:145], v[82:83]
	v_add_f64 v[142:143], v[148:149], -v[142:143]
	v_add_f64 v[148:149], v[154:155], -v[152:153]
	v_fmac_f64_e32 v[82:83], s[14:15], v[144:145]
	ds_write_b128 v9, v[116:119]
	ds_write_b128 v9, v[108:111] offset:48
	ds_write_b128 v9, v[104:107] offset:96
	;; [unrolled: 1-line block ×4, first 2 shown]
	v_lshrrev_b32_e32 v8, 16, v8
	v_lshlrev_b32_e32 v9, 4, v127
	v_fmac_f64_e32 v[98:99], s[16:17], v[146:147]
	v_add_f64 v[142:143], v[142:143], v[148:149]
	v_fmac_f64_e32 v[82:83], s[4:5], v[146:147]
	v_add3_u32 v8, 0, v8, v9
	v_fmac_f64_e32 v[98:99], s[12:13], v[142:143]
	v_fmac_f64_e32 v[82:83], s[12:13], v[142:143]
	ds_write_b128 v8, v[112:115]
	ds_write_b128 v8, v[100:103] offset:48
	ds_write_b128 v8, v[96:99] offset:96
	;; [unrolled: 1-line block ×4, first 2 shown]
	v_mul_u32_u24_e32 v8, 0xf0, v121
	v_lshlrev_b32_e32 v9, 4, v122
	v_add3_u32 v8, 0, v8, v9
	ds_write_b128 v8, v[56:59]
	ds_write_b128 v8, v[52:55] offset:48
	ds_write_b128 v8, v[60:63] offset:96
	;; [unrolled: 1-line block ×4, first 2 shown]
	v_mul_u32_u24_e32 v4, 0xf0, v123
	v_lshlrev_b32_e32 v5, 4, v124
	v_add3_u32 v4, 0, v4, v5
	s_movk_i32 s18, 0x89
	ds_write_b128 v4, v[76:79]
	ds_write_b128 v4, v[68:71] offset:48
	ds_write_b128 v4, v[72:75] offset:96
	;; [unrolled: 1-line block ×4, first 2 shown]
	v_mul_lo_u16_sdwa v0, v132, s18 dst_sel:DWORD dst_unused:UNUSED_PAD src0_sel:BYTE_0 src1_sel:DWORD
	v_lshrrev_b16_e32 v187, 11, v0
	v_mul_lo_u16_e32 v0, 15, v187
	v_sub_u16_e32 v188, v132, v0
	v_lshlrev_b32_sdwa v0, v120, v188 dst_sel:DWORD dst_unused:UNUSED_PAD src0_sel:DWORD src1_sel:BYTE_0
	s_waitcnt lgkmcnt(0)
	s_barrier
	global_load_dwordx4 v[100:103], v0, s[8:9] offset:192
	global_load_dwordx4 v[28:31], v0, s[8:9] offset:208
	;; [unrolled: 1-line block ×4, first 2 shown]
	v_mul_lo_u16_sdwa v0, v173, s18 dst_sel:DWORD dst_unused:UNUSED_PAD src0_sel:BYTE_0 src1_sel:DWORD
	v_lshrrev_b16_e32 v185, 11, v0
	v_mul_lo_u16_e32 v0, 15, v185
	v_sub_u16_e32 v186, v173, v0
	v_lshlrev_b32_sdwa v0, v120, v186 dst_sel:DWORD dst_unused:UNUSED_PAD src0_sel:DWORD src1_sel:BYTE_0
	global_load_dwordx4 v[16:19], v0, s[8:9] offset:192
	global_load_dwordx4 v[12:15], v0, s[8:9] offset:208
	;; [unrolled: 1-line block ×4, first 2 shown]
	s_mov_b32 s18, 0x8889
	v_mul_u32_u24_sdwa v0, v136, s18 dst_sel:DWORD dst_unused:UNUSED_PAD src0_sel:WORD_0 src1_sel:DWORD
	v_lshrrev_b32_e32 v179, 19, v0
	v_mul_lo_u16_e32 v0, 15, v179
	v_sub_u16_e32 v180, v136, v0
	v_lshlrev_b32_e32 v0, 6, v180
	v_mul_u32_u24_sdwa v60, v138, s18 dst_sel:DWORD dst_unused:UNUSED_PAD src0_sel:WORD_0 src1_sel:DWORD
	global_load_dwordx4 v[52:55], v0, s[8:9] offset:192
	global_load_dwordx4 v[36:39], v0, s[8:9] offset:208
	v_lshrrev_b32_e32 v181, 19, v60
	ds_read_b128 v[80:83], v176 offset:14000
	ds_read_b128 v[56:59], v176 offset:16000
	;; [unrolled: 1-line block ×6, first 2 shown]
	global_load_dwordx4 v[32:35], v0, s[8:9] offset:240
	global_load_dwordx4 v[48:51], v0, s[8:9] offset:224
	ds_read_b128 v[108:111], v176 offset:12000
	ds_read_b128 v[0:3], v176 offset:10000
	v_mul_lo_u16_e32 v60, 15, v181
	v_sub_u16_e32 v182, v138, v60
	v_lshlrev_b32_e32 v92, 6, v182
	global_load_dwordx4 v[84:87], v92, s[8:9] offset:208
	global_load_dwordx4 v[96:99], v92, s[8:9] offset:192
	ds_read_b128 v[112:115], v176 offset:24000
	ds_read_b128 v[76:79], v176 offset:22000
	;; [unrolled: 1-line block ×6, first 2 shown]
	s_waitcnt vmcnt(13) lgkmcnt(7)
	v_mul_f64 v[88:89], v[110:111], v[102:103]
	v_mul_f64 v[104:105], v[108:109], v[102:103]
	v_fma_f64 v[106:107], v[108:109], v[100:101], -v[88:89]
	v_fmac_f64_e32 v[104:105], v[110:111], v[100:101]
	s_waitcnt vmcnt(12) lgkmcnt(5)
	v_mul_f64 v[100:101], v[114:115], v[30:31]
	v_fma_f64 v[102:103], v[112:113], v[28:29], -v[100:101]
	v_mul_u32_u24_sdwa v100, v139, s18 dst_sel:DWORD dst_unused:UNUSED_PAD src0_sel:WORD_0 src1_sel:DWORD
	v_lshrrev_b32_e32 v175, 19, v100
	v_mul_lo_u16_e32 v100, 15, v175
	global_load_dwordx4 v[88:91], v92, s[8:9] offset:240
	s_nop 0
	global_load_dwordx4 v[92:95], v92, s[8:9] offset:224
	v_sub_u16_e32 v178, v139, v100
	v_mul_f64 v[116:117], v[112:113], v[30:31]
	v_lshlrev_b32_e32 v100, 6, v178
	v_fmac_f64_e32 v[116:117], v[114:115], v[28:29]
	s_waitcnt vmcnt(13) lgkmcnt(3)
	v_mul_f64 v[28:29], v[120:121], v[26:27]
	global_load_dwordx4 v[126:129], v100, s[8:9] offset:208
	global_load_dwordx4 v[190:193], v100, s[8:9] offset:192
	v_fma_f64 v[142:143], v[118:119], v[24:25], -v[28:29]
	v_mul_f64 v[118:119], v[118:119], v[26:27]
	v_fmac_f64_e32 v[118:119], v[120:121], v[24:25]
	s_waitcnt vmcnt(14) lgkmcnt(1)
	v_mul_f64 v[24:25], v[124:125], v[22:23]
	v_fma_f64 v[110:111], v[122:123], v[20:21], -v[24:25]
	global_load_dwordx4 v[112:115], v100, s[8:9] offset:240
	global_load_dwordx4 v[194:197], v100, s[8:9] offset:224
	v_mul_f64 v[24:25], v[122:123], v[22:23]
	v_mul_u32_u24_sdwa v22, v172, s18 dst_sel:DWORD dst_unused:UNUSED_PAD src0_sel:WORD_0 src1_sel:DWORD
	v_lshrrev_b32_e32 v183, 19, v22
	v_mul_lo_u16_e32 v22, 15, v183
	v_sub_u16_e32 v184, v172, v22
	v_lshlrev_b32_e32 v22, 6, v184
	v_fmac_f64_e32 v[24:25], v[124:125], v[20:21]
	global_load_dwordx4 v[198:201], v22, s[8:9] offset:208
	global_load_dwordx4 v[122:125], v22, s[8:9] offset:192
	;; [unrolled: 1-line block ×4, first 2 shown]
	s_waitcnt vmcnt(19)
	v_mul_f64 v[20:21], v[82:83], v[18:19]
	v_mul_f64 v[160:161], v[80:81], v[18:19]
	v_fma_f64 v[164:165], v[80:81], v[16:17], -v[20:21]
	v_fmac_f64_e32 v[160:161], v[82:83], v[16:17]
	s_waitcnt vmcnt(18)
	v_mul_f64 v[16:17], v[74:75], v[14:15]
	v_fma_f64 v[82:83], v[72:73], v[12:13], -v[16:17]
	v_mul_f64 v[72:73], v[72:73], v[14:15]
	v_fmac_f64_e32 v[72:73], v[74:75], v[12:13]
	ds_read_b128 v[12:15], v176 offset:50000
	s_waitcnt vmcnt(17)
	v_mul_f64 v[16:17], v[66:67], v[10:11]
	v_mul_f64 v[162:163], v[64:65], v[10:11]
	v_fma_f64 v[168:169], v[64:65], v[8:9], -v[16:17]
	v_fmac_f64_e32 v[162:163], v[66:67], v[8:9]
	ds_read_b128 v[8:11], v176 offset:52000
	s_waitcnt vmcnt(16) lgkmcnt(1)
	v_mul_f64 v[16:17], v[14:15], v[6:7]
	v_mul_f64 v[166:167], v[12:13], v[6:7]
	v_fma_f64 v[170:171], v[12:13], v[4:5], -v[16:17]
	v_fmac_f64_e32 v[166:167], v[14:15], v[4:5]
	s_waitcnt vmcnt(15)
	v_mul_f64 v[4:5], v[58:59], v[54:55]
	v_fma_f64 v[74:75], v[56:57], v[52:53], -v[4:5]
	ds_read_b128 v[4:7], v176 offset:18000
	ds_read_b128 v[12:15], v176 offset:20000
	s_waitcnt vmcnt(14)
	v_mul_f64 v[16:17], v[46:47], v[38:39]
	v_mul_f64 v[152:153], v[44:45], v[38:39]
	v_fma_f64 v[154:155], v[44:45], v[36:37], -v[16:17]
	v_fmac_f64_e32 v[152:153], v[46:47], v[36:37]
	ds_read_b128 v[18:21], v176 offset:30000
	ds_read_b128 v[36:39], v176 offset:32000
	s_waitcnt vmcnt(12)
	v_mul_f64 v[16:17], v[42:43], v[50:51]
	v_fma_f64 v[156:157], v[40:41], v[48:49], -v[16:17]
	v_mul_f64 v[50:51], v[40:41], v[50:51]
	s_waitcnt lgkmcnt(4)
	v_mul_f64 v[16:17], v[10:11], v[34:35]
	v_fmac_f64_e32 v[50:51], v[42:43], v[48:49]
	v_fma_f64 v[158:159], v[8:9], v[32:33], -v[16:17]
	v_mul_f64 v[48:49], v[8:9], v[34:35]
	s_waitcnt vmcnt(10) lgkmcnt(3)
	v_mul_f64 v[8:9], v[6:7], v[98:99]
	v_fmac_f64_e32 v[48:49], v[10:11], v[32:33]
	v_fma_f64 v[32:33], v[4:5], v[96:97], -v[8:9]
	v_mul_f64 v[16:17], v[4:5], v[98:99]
	s_waitcnt lgkmcnt(1)
	v_mul_f64 v[8:9], v[20:21], v[86:87]
	v_fmac_f64_e32 v[16:17], v[6:7], v[96:97]
	ds_read_b128 v[4:7], v176 offset:42000
	ds_read_b128 v[40:43], v176 offset:44000
	v_fma_f64 v[144:145], v[18:19], v[84:85], -v[8:9]
	ds_read_b128 v[8:11], v176 offset:54000
	ds_read_b128 v[44:47], v176 offset:56000
	v_mul_f64 v[18:19], v[18:19], v[86:87]
	v_fmac_f64_e32 v[18:19], v[20:21], v[84:85]
	v_mul_f64 v[150:151], v[56:57], v[54:55]
	v_fmac_f64_e32 v[150:151], v[58:59], v[52:53]
	v_add_f64 v[56:57], v[160:161], -v[166:167]
	s_movk_i32 s18, 0x4b
	v_cmp_gt_u32_e32 vcc, s18, v132
	s_movk_i32 s18, 0xdb
	s_waitcnt vmcnt(9) lgkmcnt(1)
	v_mul_f64 v[34:35], v[8:9], v[90:91]
	s_waitcnt vmcnt(8)
	v_mul_f64 v[20:21], v[6:7], v[94:95]
	v_fma_f64 v[146:147], v[4:5], v[92:93], -v[20:21]
	v_mul_f64 v[20:21], v[4:5], v[94:95]
	v_mul_f64 v[4:5], v[10:11], v[90:91]
	v_fma_f64 v[148:149], v[8:9], v[88:89], -v[4:5]
	v_fmac_f64_e32 v[20:21], v[6:7], v[92:93]
	s_waitcnt vmcnt(6)
	v_mul_f64 v[4:5], v[14:15], v[192:193]
	v_fma_f64 v[22:23], v[12:13], v[190:191], -v[4:5]
	v_mul_f64 v[28:29], v[12:13], v[192:193]
	v_mul_f64 v[12:13], v[38:39], v[128:129]
	v_fma_f64 v[26:27], v[36:37], v[126:127], -v[12:13]
	v_fmac_f64_e32 v[34:35], v[10:11], v[88:89]
	s_waitcnt vmcnt(4)
	v_mul_f64 v[12:13], v[42:43], v[196:197]
	v_fmac_f64_e32 v[28:29], v[14:15], v[190:191]
	ds_read_b128 v[8:11], v176 offset:2000
	ds_read_b128 v[4:7], v176 offset:8000
	v_fma_f64 v[52:53], v[40:41], v[194:195], -v[12:13]
	ds_read_b128 v[92:95], v176
	ds_read_b128 v[12:15], v176 offset:58000
	v_mul_f64 v[30:31], v[36:37], v[128:129]
	v_fmac_f64_e32 v[30:31], v[38:39], v[126:127]
	s_waitcnt lgkmcnt(4)
	v_mul_f64 v[38:39], v[46:47], v[114:115]
	v_mul_f64 v[36:37], v[40:41], v[196:197]
	v_fma_f64 v[54:55], v[44:45], v[112:113], -v[38:39]
	v_mul_f64 v[40:41], v[44:45], v[114:115]
	s_waitcnt vmcnt(0)
	v_mul_f64 v[44:45], v[62:63], v[208:209]
	v_fma_f64 v[128:129], v[60:61], v[206:207], -v[44:45]
	s_waitcnt lgkmcnt(0)
	v_mul_f64 v[44:45], v[14:15], v[204:205]
	v_fma_f64 v[140:141], v[12:13], v[202:203], -v[44:45]
	v_mul_f64 v[126:127], v[12:13], v[204:205]
	v_add_f64 v[12:13], v[92:93], v[106:107]
	v_add_f64 v[12:13], v[12:13], v[102:103]
	;; [unrolled: 1-line block ×3, first 2 shown]
	v_fmac_f64_e32 v[40:41], v[46:47], v[112:113]
	v_add_f64 v[112:113], v[12:13], v[110:111]
	v_add_f64 v[12:13], v[102:103], v[142:143]
	v_fma_f64 v[96:97], -0.5, v[12:13], v[92:93]
	v_add_f64 v[12:13], v[104:105], -v[24:25]
	v_fmac_f64_e32 v[126:127], v[14:15], v[202:203]
	v_fma_f64 v[108:109], s[10:11], v[12:13], v[96:97]
	v_add_f64 v[14:15], v[116:117], -v[118:119]
	v_add_f64 v[44:45], v[106:107], -v[102:103]
	;; [unrolled: 1-line block ×3, first 2 shown]
	v_fmac_f64_e32 v[96:97], s[14:15], v[12:13]
	v_fmac_f64_e32 v[108:109], s[4:5], v[14:15]
	v_add_f64 v[44:45], v[44:45], v[46:47]
	v_fmac_f64_e32 v[96:97], s[16:17], v[14:15]
	v_fmac_f64_e32 v[108:109], s[12:13], v[44:45]
	;; [unrolled: 1-line block ×3, first 2 shown]
	v_add_f64 v[44:45], v[106:107], v[110:111]
	v_fmac_f64_e32 v[92:93], -0.5, v[44:45]
	v_fma_f64 v[100:101], s[14:15], v[14:15], v[92:93]
	v_fmac_f64_e32 v[92:93], s[10:11], v[14:15]
	v_fmac_f64_e32 v[100:101], s[4:5], v[12:13]
	v_fmac_f64_e32 v[92:93], s[16:17], v[12:13]
	v_add_f64 v[12:13], v[94:95], v[104:105]
	v_add_f64 v[12:13], v[12:13], v[116:117]
	;; [unrolled: 1-line block ×3, first 2 shown]
	v_add_f64 v[44:45], v[102:103], -v[106:107]
	v_add_f64 v[46:47], v[142:143], -v[110:111]
	v_add_f64 v[114:115], v[12:13], v[24:25]
	v_add_f64 v[12:13], v[116:117], v[118:119]
	;; [unrolled: 1-line block ×3, first 2 shown]
	v_fma_f64 v[98:99], -0.5, v[12:13], v[94:95]
	v_add_f64 v[12:13], v[106:107], -v[110:111]
	v_fmac_f64_e32 v[100:101], s[12:13], v[44:45]
	v_fmac_f64_e32 v[92:93], s[12:13], v[44:45]
	v_fma_f64 v[110:111], s[14:15], v[12:13], v[98:99]
	v_add_f64 v[14:15], v[102:103], -v[142:143]
	v_add_f64 v[44:45], v[104:105], -v[116:117]
	;; [unrolled: 1-line block ×3, first 2 shown]
	v_fmac_f64_e32 v[98:99], s[10:11], v[12:13]
	v_fmac_f64_e32 v[110:111], s[16:17], v[14:15]
	v_add_f64 v[44:45], v[44:45], v[46:47]
	v_fmac_f64_e32 v[98:99], s[4:5], v[14:15]
	v_fmac_f64_e32 v[110:111], s[12:13], v[44:45]
	;; [unrolled: 1-line block ×3, first 2 shown]
	v_add_f64 v[44:45], v[104:105], v[24:25]
	v_fmac_f64_e32 v[94:95], -0.5, v[44:45]
	v_fma_f64 v[102:103], s[10:11], v[14:15], v[94:95]
	v_add_f64 v[44:45], v[116:117], -v[104:105]
	v_add_f64 v[24:25], v[118:119], -v[24:25]
	v_fmac_f64_e32 v[94:95], s[14:15], v[14:15]
	v_fmac_f64_e32 v[102:103], s[16:17], v[12:13]
	v_add_f64 v[24:25], v[44:45], v[24:25]
	v_fmac_f64_e32 v[94:95], s[4:5], v[12:13]
	v_fmac_f64_e32 v[102:103], s[12:13], v[24:25]
	;; [unrolled: 1-line block ×3, first 2 shown]
	v_add_f64 v[24:25], v[8:9], v[164:165]
	v_add_f64 v[12:13], v[82:83], v[168:169]
	v_fma_f64 v[64:65], -0.5, v[12:13], v[8:9]
	v_add_f64 v[24:25], v[24:25], v[82:83]
	v_fma_f64 v[104:105], s[10:11], v[56:57], v[64:65]
	v_add_f64 v[12:13], v[72:73], -v[162:163]
	v_add_f64 v[14:15], v[164:165], -v[82:83]
	;; [unrolled: 1-line block ×3, first 2 shown]
	v_fmac_f64_e32 v[64:65], s[14:15], v[56:57]
	v_add_f64 v[24:25], v[24:25], v[168:169]
	v_fmac_f64_e32 v[104:105], s[4:5], v[12:13]
	v_add_f64 v[14:15], v[14:15], v[44:45]
	;; [unrolled: 2-line block ×3, first 2 shown]
	v_add_f64 v[24:25], v[10:11], v[160:161]
	v_fmac_f64_e32 v[104:105], s[12:13], v[14:15]
	v_fmac_f64_e32 v[64:65], s[12:13], v[14:15]
	v_add_f64 v[14:15], v[164:165], v[170:171]
	v_add_f64 v[24:25], v[24:25], v[72:73]
	v_fmac_f64_e32 v[8:9], -0.5, v[14:15]
	v_add_f64 v[24:25], v[24:25], v[162:163]
	v_fma_f64 v[80:81], s[14:15], v[12:13], v[8:9]
	v_add_f64 v[14:15], v[82:83], -v[164:165]
	v_add_f64 v[44:45], v[168:169], -v[170:171]
	v_fmac_f64_e32 v[8:9], s[10:11], v[12:13]
	v_add_f64 v[118:119], v[24:25], v[166:167]
	v_add_f64 v[24:25], v[72:73], v[162:163]
	;; [unrolled: 1-line block ×3, first 2 shown]
	v_fmac_f64_e32 v[80:81], s[4:5], v[56:57]
	v_fmac_f64_e32 v[8:9], s[16:17], v[56:57]
	v_fma_f64 v[66:67], -0.5, v[24:25], v[10:11]
	v_add_f64 v[24:25], v[164:165], -v[170:171]
	v_mul_f64 v[38:39], v[78:79], v[124:125]
	v_mul_f64 v[120:121], v[76:77], v[124:125]
	;; [unrolled: 1-line block ×3, first 2 shown]
	v_fmac_f64_e32 v[80:81], s[12:13], v[58:59]
	v_fmac_f64_e32 v[8:9], s[12:13], v[58:59]
	v_fma_f64 v[106:107], s[14:15], v[24:25], v[66:67]
	v_add_f64 v[56:57], v[82:83], -v[168:169]
	v_add_f64 v[58:59], v[160:161], -v[72:73]
	;; [unrolled: 1-line block ×3, first 2 shown]
	v_fmac_f64_e32 v[66:67], s[10:11], v[24:25]
	ds_read_b128 v[44:47], v133
	ds_read_b128 v[12:15], v177
	v_fmac_f64_e32 v[106:107], s[16:17], v[56:57]
	v_add_f64 v[58:59], v[58:59], v[60:61]
	v_fmac_f64_e32 v[66:67], s[4:5], v[56:57]
	v_fmac_f64_e32 v[106:107], s[12:13], v[58:59]
	v_fmac_f64_e32 v[66:67], s[12:13], v[58:59]
	v_add_f64 v[58:59], v[160:161], v[166:167]
	v_fmac_f64_e32 v[10:11], -0.5, v[58:59]
	v_fma_f64 v[82:83], s[10:11], v[56:57], v[10:11]
	v_add_f64 v[58:59], v[72:73], -v[160:161]
	v_add_f64 v[60:61], v[162:163], -v[166:167]
	v_fmac_f64_e32 v[10:11], s[14:15], v[56:57]
	v_fmac_f64_e32 v[82:83], s[16:17], v[24:25]
	v_add_f64 v[58:59], v[58:59], v[60:61]
	v_fmac_f64_e32 v[10:11], s[4:5], v[24:25]
	s_waitcnt lgkmcnt(1)
	v_add_f64 v[24:25], v[44:45], v[74:75]
	v_add_f64 v[56:57], v[154:155], v[156:157]
	v_fmac_f64_e32 v[36:37], v[42:43], v[194:195]
	v_mul_f64 v[42:43], v[70:71], v[200:201]
	v_fmac_f64_e32 v[82:83], s[12:13], v[58:59]
	v_fmac_f64_e32 v[10:11], s[12:13], v[58:59]
	v_fma_f64 v[56:57], -0.5, v[56:57], v[44:45]
	v_add_f64 v[58:59], v[150:151], -v[48:49]
	v_add_f64 v[24:25], v[24:25], v[154:155]
	v_fma_f64 v[38:39], v[76:77], v[122:123], -v[38:39]
	v_fmac_f64_e32 v[120:121], v[78:79], v[122:123]
	v_fma_f64 v[42:43], v[68:69], v[198:199], -v[42:43]
	v_mul_f64 v[122:123], v[68:69], v[200:201]
	v_fmac_f64_e32 v[124:125], v[62:63], v[206:207]
	v_fma_f64 v[76:77], s[10:11], v[58:59], v[56:57]
	v_add_f64 v[60:61], v[152:153], -v[50:51]
	v_add_f64 v[62:63], v[74:75], -v[154:155]
	;; [unrolled: 1-line block ×3, first 2 shown]
	v_fmac_f64_e32 v[56:57], s[14:15], v[58:59]
	v_add_f64 v[24:25], v[24:25], v[156:157]
	v_fmac_f64_e32 v[76:77], s[4:5], v[60:61]
	v_add_f64 v[62:63], v[62:63], v[68:69]
	;; [unrolled: 2-line block ×3, first 2 shown]
	v_add_f64 v[24:25], v[46:47], v[150:151]
	v_fmac_f64_e32 v[76:77], s[12:13], v[62:63]
	v_fmac_f64_e32 v[56:57], s[12:13], v[62:63]
	v_add_f64 v[62:63], v[74:75], v[158:159]
	v_add_f64 v[24:25], v[24:25], v[152:153]
	v_fmac_f64_e32 v[44:45], -0.5, v[62:63]
	v_add_f64 v[24:25], v[24:25], v[50:51]
	v_add_f64 v[62:63], v[154:155], -v[74:75]
	v_add_f64 v[68:69], v[156:157], -v[158:159]
	v_fma_f64 v[72:73], s[14:15], v[60:61], v[44:45]
	v_fmac_f64_e32 v[44:45], s[10:11], v[60:61]
	v_add_f64 v[90:91], v[24:25], v[48:49]
	v_add_f64 v[24:25], v[152:153], v[50:51]
	;; [unrolled: 1-line block ×3, first 2 shown]
	v_fmac_f64_e32 v[72:73], s[4:5], v[58:59]
	v_fmac_f64_e32 v[44:45], s[16:17], v[58:59]
	v_fma_f64 v[58:59], -0.5, v[24:25], v[46:47]
	v_add_f64 v[24:25], v[74:75], -v[158:159]
	v_fmac_f64_e32 v[72:73], s[12:13], v[62:63]
	v_fmac_f64_e32 v[44:45], s[12:13], v[62:63]
	v_fma_f64 v[78:79], s[14:15], v[24:25], v[58:59]
	v_add_f64 v[60:61], v[154:155], -v[156:157]
	v_add_f64 v[62:63], v[150:151], -v[152:153]
	;; [unrolled: 1-line block ×3, first 2 shown]
	v_fmac_f64_e32 v[58:59], s[10:11], v[24:25]
	v_fmac_f64_e32 v[78:79], s[16:17], v[60:61]
	v_add_f64 v[62:63], v[62:63], v[68:69]
	v_fmac_f64_e32 v[58:59], s[4:5], v[60:61]
	v_fmac_f64_e32 v[78:79], s[12:13], v[62:63]
	;; [unrolled: 1-line block ×3, first 2 shown]
	v_add_f64 v[62:63], v[150:151], v[48:49]
	v_fmac_f64_e32 v[46:47], -0.5, v[62:63]
	v_fma_f64 v[74:75], s[10:11], v[60:61], v[46:47]
	v_add_f64 v[62:63], v[152:153], -v[150:151]
	v_add_f64 v[48:49], v[50:51], -v[48:49]
	v_fmac_f64_e32 v[46:47], s[14:15], v[60:61]
	v_fmac_f64_e32 v[74:75], s[16:17], v[24:25]
	v_add_f64 v[48:49], v[62:63], v[48:49]
	v_fmac_f64_e32 v[46:47], s[4:5], v[24:25]
	v_fmac_f64_e32 v[74:75], s[12:13], v[48:49]
	;; [unrolled: 1-line block ×3, first 2 shown]
	s_waitcnt lgkmcnt(0)
	v_add_f64 v[24:25], v[12:13], v[32:33]
	v_add_f64 v[48:49], v[144:145], v[146:147]
	v_fma_f64 v[48:49], -0.5, v[48:49], v[12:13]
	v_add_f64 v[50:51], v[16:17], -v[34:35]
	v_add_f64 v[24:25], v[24:25], v[144:145]
	v_fmac_f64_e32 v[122:123], v[70:71], v[198:199]
	v_fma_f64 v[68:69], s[10:11], v[50:51], v[48:49]
	v_add_f64 v[62:63], v[18:19], -v[20:21]
	v_add_f64 v[60:61], v[32:33], -v[144:145]
	;; [unrolled: 1-line block ×3, first 2 shown]
	v_fmac_f64_e32 v[48:49], s[14:15], v[50:51]
	v_add_f64 v[24:25], v[24:25], v[146:147]
	v_fmac_f64_e32 v[68:69], s[4:5], v[62:63]
	v_add_f64 v[60:61], v[60:61], v[70:71]
	;; [unrolled: 2-line block ×3, first 2 shown]
	v_add_f64 v[24:25], v[14:15], v[16:17]
	v_fmac_f64_e32 v[68:69], s[12:13], v[60:61]
	v_fmac_f64_e32 v[48:49], s[12:13], v[60:61]
	v_add_f64 v[60:61], v[32:33], v[148:149]
	v_add_f64 v[24:25], v[24:25], v[18:19]
	v_fmac_f64_e32 v[12:13], -0.5, v[60:61]
	v_add_f64 v[60:61], v[144:145], -v[32:33]
	v_add_f64 v[70:71], v[146:147], -v[148:149]
	v_add_f64 v[24:25], v[24:25], v[20:21]
	v_add_f64 v[70:71], v[60:61], v[70:71]
	v_fma_f64 v[60:61], s[14:15], v[62:63], v[12:13]
	v_fmac_f64_e32 v[12:13], s[10:11], v[62:63]
	v_add_f64 v[86:87], v[24:25], v[34:35]
	v_add_f64 v[24:25], v[18:19], v[20:21]
	v_fmac_f64_e32 v[60:61], s[4:5], v[50:51]
	v_fmac_f64_e32 v[12:13], s[16:17], v[50:51]
	v_fma_f64 v[50:51], -0.5, v[24:25], v[14:15]
	v_add_f64 v[24:25], v[32:33], -v[148:149]
	v_fmac_f64_e32 v[60:61], s[12:13], v[70:71]
	v_fmac_f64_e32 v[12:13], s[12:13], v[70:71]
	v_fma_f64 v[70:71], s[14:15], v[24:25], v[50:51]
	v_add_f64 v[32:33], v[144:145], -v[146:147]
	v_add_f64 v[62:63], v[16:17], -v[18:19]
	;; [unrolled: 1-line block ×3, first 2 shown]
	v_fmac_f64_e32 v[50:51], s[10:11], v[24:25]
	v_fmac_f64_e32 v[70:71], s[16:17], v[32:33]
	v_add_f64 v[62:63], v[62:63], v[142:143]
	v_fmac_f64_e32 v[50:51], s[4:5], v[32:33]
	v_fmac_f64_e32 v[70:71], s[12:13], v[62:63]
	;; [unrolled: 1-line block ×3, first 2 shown]
	v_add_f64 v[62:63], v[16:17], v[34:35]
	v_fmac_f64_e32 v[14:15], -0.5, v[62:63]
	v_fma_f64 v[62:63], s[10:11], v[32:33], v[14:15]
	v_add_f64 v[16:17], v[18:19], -v[16:17]
	v_add_f64 v[18:19], v[20:21], -v[34:35]
	v_fmac_f64_e32 v[14:15], s[14:15], v[32:33]
	v_fmac_f64_e32 v[62:63], s[16:17], v[24:25]
	v_add_f64 v[16:17], v[16:17], v[18:19]
	v_fmac_f64_e32 v[14:15], s[4:5], v[24:25]
	v_fmac_f64_e32 v[62:63], s[12:13], v[16:17]
	;; [unrolled: 1-line block ×3, first 2 shown]
	v_add_f64 v[16:17], v[26:27], v[52:53]
	v_fma_f64 v[16:17], -0.5, v[16:17], v[4:5]
	v_add_f64 v[32:33], v[28:29], -v[40:41]
	v_fma_f64 v[20:21], s[10:11], v[32:33], v[16:17]
	v_add_f64 v[34:35], v[30:31], -v[36:37]
	v_add_f64 v[24:25], v[22:23], -v[26:27]
	;; [unrolled: 1-line block ×3, first 2 shown]
	v_fmac_f64_e32 v[16:17], s[14:15], v[32:33]
	v_fmac_f64_e32 v[20:21], s[4:5], v[34:35]
	v_add_f64 v[24:25], v[24:25], v[142:143]
	v_fmac_f64_e32 v[16:17], s[16:17], v[34:35]
	v_add_f64 v[18:19], v[4:5], v[22:23]
	v_fmac_f64_e32 v[20:21], s[12:13], v[24:25]
	v_fmac_f64_e32 v[16:17], s[12:13], v[24:25]
	v_add_f64 v[24:25], v[22:23], v[54:55]
	v_fmac_f64_e32 v[4:5], -0.5, v[24:25]
	v_add_f64 v[24:25], v[26:27], -v[22:23]
	v_add_f64 v[142:143], v[52:53], -v[54:55]
	v_add_f64 v[18:19], v[18:19], v[26:27]
	v_add_f64 v[142:143], v[24:25], v[142:143]
	v_fma_f64 v[24:25], s[14:15], v[34:35], v[4:5]
	v_fmac_f64_e32 v[4:5], s[10:11], v[34:35]
	v_add_f64 v[18:19], v[18:19], v[52:53]
	v_fmac_f64_e32 v[24:25], s[4:5], v[32:33]
	v_fmac_f64_e32 v[4:5], s[16:17], v[32:33]
	v_add_f64 v[32:33], v[18:19], v[54:55]
	v_add_f64 v[18:19], v[6:7], v[28:29]
	;; [unrolled: 1-line block ×6, first 2 shown]
	v_fma_f64 v[18:19], -0.5, v[18:19], v[6:7]
	v_add_f64 v[54:55], v[22:23], -v[54:55]
	v_fmac_f64_e32 v[24:25], s[12:13], v[142:143]
	v_fmac_f64_e32 v[4:5], s[12:13], v[142:143]
	v_fma_f64 v[22:23], s[14:15], v[54:55], v[18:19]
	v_add_f64 v[52:53], v[26:27], -v[52:53]
	v_add_f64 v[26:27], v[28:29], -v[30:31]
	;; [unrolled: 1-line block ×3, first 2 shown]
	v_fmac_f64_e32 v[18:19], s[10:11], v[54:55]
	v_fmac_f64_e32 v[22:23], s[16:17], v[52:53]
	v_add_f64 v[26:27], v[26:27], v[142:143]
	v_fmac_f64_e32 v[18:19], s[4:5], v[52:53]
	v_fmac_f64_e32 v[22:23], s[12:13], v[26:27]
	;; [unrolled: 1-line block ×3, first 2 shown]
	v_add_f64 v[26:27], v[28:29], v[40:41]
	v_fmac_f64_e32 v[6:7], -0.5, v[26:27]
	v_fma_f64 v[26:27], s[10:11], v[52:53], v[6:7]
	v_add_f64 v[28:29], v[30:31], -v[28:29]
	v_add_f64 v[30:31], v[36:37], -v[40:41]
	v_fmac_f64_e32 v[6:7], s[14:15], v[52:53]
	v_fmac_f64_e32 v[26:27], s[16:17], v[54:55]
	v_add_f64 v[28:29], v[28:29], v[30:31]
	v_fmac_f64_e32 v[6:7], s[4:5], v[54:55]
	v_fmac_f64_e32 v[26:27], s[12:13], v[28:29]
	v_fmac_f64_e32 v[6:7], s[12:13], v[28:29]
	v_add_f64 v[28:29], v[42:43], v[128:129]
	v_fma_f64 v[28:29], -0.5, v[28:29], v[0:1]
	v_add_f64 v[52:53], v[120:121], -v[126:127]
	v_fma_f64 v[36:37], s[10:11], v[52:53], v[28:29]
	v_add_f64 v[54:55], v[122:123], -v[124:125]
	v_add_f64 v[40:41], v[38:39], -v[42:43]
	v_add_f64 v[142:143], v[140:141], -v[128:129]
	v_fmac_f64_e32 v[28:29], s[14:15], v[52:53]
	v_fmac_f64_e32 v[36:37], s[4:5], v[54:55]
	v_add_f64 v[40:41], v[40:41], v[142:143]
	v_fmac_f64_e32 v[28:29], s[16:17], v[54:55]
	v_add_f64 v[30:31], v[0:1], v[38:39]
	v_fmac_f64_e32 v[36:37], s[12:13], v[40:41]
	v_fmac_f64_e32 v[28:29], s[12:13], v[40:41]
	v_add_f64 v[40:41], v[38:39], v[140:141]
	v_fmac_f64_e32 v[0:1], -0.5, v[40:41]
	v_add_f64 v[40:41], v[42:43], -v[38:39]
	v_add_f64 v[142:143], v[128:129], -v[140:141]
	v_add_f64 v[30:31], v[30:31], v[42:43]
	v_add_f64 v[142:143], v[40:41], v[142:143]
	v_fma_f64 v[40:41], s[14:15], v[54:55], v[0:1]
	v_fmac_f64_e32 v[0:1], s[10:11], v[54:55]
	v_add_f64 v[30:31], v[30:31], v[128:129]
	v_fmac_f64_e32 v[40:41], s[4:5], v[52:53]
	v_fmac_f64_e32 v[0:1], s[16:17], v[52:53]
	v_add_f64 v[52:53], v[30:31], v[140:141]
	v_add_f64 v[30:31], v[2:3], v[120:121]
	;; [unrolled: 1-line block ×6, first 2 shown]
	v_fma_f64 v[30:31], -0.5, v[30:31], v[2:3]
	v_add_f64 v[140:141], v[38:39], -v[140:141]
	v_fmac_f64_e32 v[40:41], s[12:13], v[142:143]
	v_fmac_f64_e32 v[0:1], s[12:13], v[142:143]
	v_fma_f64 v[38:39], s[14:15], v[140:141], v[30:31]
	v_add_f64 v[128:129], v[42:43], -v[128:129]
	v_add_f64 v[42:43], v[120:121], -v[122:123]
	;; [unrolled: 1-line block ×3, first 2 shown]
	v_fmac_f64_e32 v[30:31], s[10:11], v[140:141]
	v_fmac_f64_e32 v[38:39], s[16:17], v[128:129]
	v_add_f64 v[42:43], v[42:43], v[142:143]
	v_fmac_f64_e32 v[30:31], s[4:5], v[128:129]
	v_fmac_f64_e32 v[38:39], s[12:13], v[42:43]
	;; [unrolled: 1-line block ×3, first 2 shown]
	v_add_f64 v[42:43], v[120:121], v[126:127]
	v_fmac_f64_e32 v[2:3], -0.5, v[42:43]
	v_fma_f64 v[42:43], s[10:11], v[128:129], v[2:3]
	v_add_f64 v[120:121], v[122:123], -v[120:121]
	v_add_f64 v[122:123], v[124:125], -v[126:127]
	v_fmac_f64_e32 v[2:3], s[14:15], v[128:129]
	v_fmac_f64_e32 v[42:43], s[16:17], v[140:141]
	v_add_f64 v[120:121], v[120:121], v[122:123]
	v_fmac_f64_e32 v[2:3], s[4:5], v[140:141]
	v_fmac_f64_e32 v[42:43], s[12:13], v[120:121]
	;; [unrolled: 1-line block ×3, first 2 shown]
	v_mul_u32_u24_e32 v120, 0x4b0, v187
	v_lshlrev_b32_sdwa v121, v174, v188 dst_sel:DWORD dst_unused:UNUSED_PAD src0_sel:DWORD src1_sel:BYTE_0
	v_add3_u32 v120, 0, v120, v121
	s_barrier
	ds_write_b128 v120, v[112:115]
	ds_write_b128 v120, v[108:111] offset:240
	ds_write_b128 v120, v[100:103] offset:480
	;; [unrolled: 1-line block ×4, first 2 shown]
	v_mul_u32_u24_e32 v92, 0x4b0, v185
	v_lshlrev_b32_sdwa v93, v174, v186 dst_sel:DWORD dst_unused:UNUSED_PAD src0_sel:DWORD src1_sel:BYTE_0
	v_add3_u32 v92, 0, v92, v93
	ds_write_b128 v92, v[116:119]
	ds_write_b128 v92, v[104:107] offset:240
	ds_write_b128 v92, v[80:83] offset:480
	ds_write_b128 v92, v[8:11] offset:720
	ds_write_b128 v92, v[64:67] offset:960
	v_mul_u32_u24_e32 v8, 0x4b0, v179
	v_lshlrev_b32_e32 v9, 4, v180
	v_add3_u32 v8, 0, v8, v9
	ds_write_b128 v8, v[88:91]
	ds_write_b128 v8, v[76:79] offset:240
	ds_write_b128 v8, v[72:75] offset:480
	ds_write_b128 v8, v[44:47] offset:720
	ds_write_b128 v8, v[56:59] offset:960
	v_mul_u32_u24_e32 v8, 0x4b0, v181
	v_lshlrev_b32_e32 v9, 4, v182
	;; [unrolled: 8-line block ×4, first 2 shown]
	v_add3_u32 v4, 0, v4, v5
	ds_write_b128 v4, v[52:55]
	ds_write_b128 v4, v[36:39] offset:240
	ds_write_b128 v4, v[40:43] offset:480
	;; [unrolled: 1-line block ×4, first 2 shown]
	v_add_u32_e32 v0, 0xffffffb5, v132
	v_cndmask_b32_e32 v166, v0, v132, vcc
	v_mul_i32_i24_e32 v0, 9, v166
	v_mov_b32_e32 v1, v137
	v_lshl_add_u64 v[0:1], v[0:1], 4, s[8:9]
	s_waitcnt lgkmcnt(0)
	s_barrier
	global_load_dwordx4 v[52:55], v[0:1], off offset:1152
	global_load_dwordx4 v[48:51], v[0:1], off offset:1168
	;; [unrolled: 1-line block ×8, first 2 shown]
	v_mul_lo_u16_sdwa v2, v173, s18 dst_sel:DWORD dst_unused:UNUSED_PAD src0_sel:BYTE_0 src1_sel:DWORD
	v_lshrrev_b16_e32 v168, 14, v2
	global_load_dwordx4 v[56:59], v[0:1], off offset:1280
	v_mul_lo_u16_e32 v0, 0x4b, v168
	v_sub_u16_e32 v167, v173, v0
	v_mov_b32_e32 v0, 9
	v_mul_u32_u24_sdwa v0, v167, v0 dst_sel:DWORD dst_unused:UNUSED_PAD src0_sel:BYTE_0 src1_sel:DWORD
	v_lshlrev_b32_e32 v126, 4, v0
	ds_read_b128 v[20:23], v176 offset:8000
	global_load_dwordx4 v[84:87], v126, s[8:9] offset:1152
	ds_read_b128 v[100:103], v176 offset:18000
	ds_read_b128 v[68:71], v176 offset:20000
	global_load_dwordx4 v[72:75], v126, s[8:9] offset:1184
	global_load_dwordx4 v[80:83], v126, s[8:9] offset:1168
	ds_read_b128 v[96:99], v176 offset:30000
	ds_read_b128 v[64:67], v176 offset:32000
	;; [unrolled: 1-line block ×7, first 2 shown]
	ds_read_b128 v[104:107], v177
	ds_read_b128 v[0:3], v133
	global_load_dwordx4 v[76:79], v126, s[8:9] offset:1200
	ds_read_b128 v[108:111], v176 offset:12000
	ds_read_b128 v[16:19], v176 offset:10000
	s_mov_b32 s18, 0xb4e9
	global_load_dwordx4 v[112:115], v126, s[8:9] offset:1216
	ds_read_b128 v[116:119], v176 offset:14000
	ds_read_b128 v[44:47], v176 offset:16000
	global_load_dwordx4 v[178:181], v126, s[8:9] offset:1248
	global_load_dwordx4 v[182:185], v126, s[8:9] offset:1232
	s_waitcnt vmcnt(15) lgkmcnt(5)
	v_mul_f64 v[120:121], v[106:107], v[54:55]
	v_mul_f64 v[124:125], v[104:105], v[54:55]
	v_fma_f64 v[122:123], v[104:105], v[52:53], -v[120:121]
	v_fmac_f64_e32 v[124:125], v[106:107], v[52:53]
	s_waitcnt vmcnt(14) lgkmcnt(3)
	v_mul_f64 v[52:53], v[110:111], v[50:51]
	v_fma_f64 v[146:147], v[108:109], v[48:49], -v[52:53]
	v_mul_u32_u24_sdwa v52, v136, s18 dst_sel:DWORD dst_unused:UNUSED_PAD src0_sel:WORD_0 src1_sel:DWORD
	v_sub_u16_sdwa v53, v136, v52 dst_sel:DWORD dst_unused:UNUSED_PAD src0_sel:DWORD src1_sel:WORD_1
	v_lshrrev_b16_e32 v53, 1, v53
	v_add_u16_sdwa v52, v53, v52 dst_sel:DWORD dst_unused:UNUSED_PAD src0_sel:DWORD src1_sel:WORD_1
	v_lshrrev_b16_e32 v169, 6, v52
	v_mul_lo_u16_e32 v52, 0x4b, v169
	v_mul_f64 v[142:143], v[108:109], v[50:51]
	v_sub_u16_e32 v170, v136, v52
	v_fmac_f64_e32 v[142:143], v[110:111], v[48:49]
	global_load_dwordx4 v[48:51], v126, s[8:9] offset:1264
	global_load_dwordx4 v[104:107], v126, s[8:9] offset:1280
	v_mul_u32_u24_e32 v52, 9, v170
	v_lshlrev_b32_e32 v171, 4, v52
	global_load_dwordx4 v[52:55], v171, s[8:9] offset:1168
	global_load_dwordx4 v[186:189], v171, s[8:9] offset:1152
	ds_read_b128 v[108:111], v176 offset:24000
	s_waitcnt vmcnt(17)
	v_mul_f64 v[120:121], v[102:103], v[10:11]
	v_mul_f64 v[144:145], v[100:101], v[10:11]
	v_fma_f64 v[148:149], v[100:101], v[8:9], -v[120:121]
	v_fmac_f64_e32 v[144:145], v[102:103], v[8:9]
	ds_read_b128 v[8:11], v176 offset:22000
	s_waitcnt vmcnt(16) lgkmcnt(1)
	v_mul_f64 v[100:101], v[110:111], v[6:7]
	v_fma_f64 v[160:161], v[108:109], v[4:5], -v[100:101]
	ds_read_b128 v[100:103], v176 offset:36000
	v_mul_f64 v[154:155], v[108:109], v[6:7]
	v_fmac_f64_e32 v[154:155], v[110:111], v[4:5]
	s_waitcnt vmcnt(15)
	v_mul_f64 v[4:5], v[98:99], v[42:43]
	v_mul_f64 v[42:43], v[96:97], v[42:43]
	v_fma_f64 v[150:151], v[96:97], v[40:41], -v[4:5]
	ds_read_b128 v[4:7], v176 offset:34000
	v_fmac_f64_e32 v[42:43], v[98:99], v[40:41]
	s_waitcnt vmcnt(14) lgkmcnt(1)
	v_mul_f64 v[40:41], v[102:103], v[38:39]
	v_mul_f64 v[156:157], v[100:101], v[38:39]
	v_fma_f64 v[162:163], v[100:101], v[36:37], -v[40:41]
	v_fmac_f64_e32 v[156:157], v[102:103], v[36:37]
	ds_read_b128 v[36:39], v176 offset:48000
	s_waitcnt vmcnt(13)
	v_mul_f64 v[40:41], v[94:95], v[34:35]
	v_fma_f64 v[152:153], v[92:93], v[32:33], -v[40:41]
	v_mul_f64 v[40:41], v[92:93], v[34:35]
	v_fmac_f64_e32 v[40:41], v[94:95], v[32:33]
	ds_read_b128 v[32:35], v176 offset:46000
	s_waitcnt vmcnt(12) lgkmcnt(1)
	v_mul_f64 v[92:93], v[38:39], v[30:31]
	v_mul_f64 v[158:159], v[36:37], v[30:31]
	v_fma_f64 v[164:165], v[36:37], v[28:29], -v[92:93]
	v_fmac_f64_e32 v[158:159], v[38:39], v[28:29]
	s_waitcnt vmcnt(11)
	v_mul_f64 v[28:29], v[90:91], v[58:59]
	v_fma_f64 v[30:31], v[88:89], v[56:57], -v[28:29]
	v_mul_f64 v[28:29], v[88:89], v[58:59]
	v_fmac_f64_e32 v[28:29], v[90:91], v[56:57]
	ds_read_b128 v[36:39], v176 offset:26000
	ds_read_b128 v[88:91], v176 offset:28000
	s_waitcnt vmcnt(10)
	v_mul_f64 v[56:57], v[22:23], v[86:87]
	v_fma_f64 v[58:59], v[20:21], v[84:85], -v[56:57]
	v_mul_f64 v[108:109], v[20:21], v[86:87]
	s_waitcnt vmcnt(8)
	v_mul_f64 v[20:21], v[118:119], v[82:83]
	v_fmac_f64_e32 v[108:109], v[22:23], v[84:85]
	v_fma_f64 v[126:127], v[116:117], v[80:81], -v[20:21]
	v_mul_f64 v[82:83], v[116:117], v[82:83]
	ds_read_b128 v[20:23], v176 offset:38000
	ds_read_b128 v[190:193], v176 offset:40000
	v_mul_f64 v[56:57], v[70:71], v[74:75]
	v_fmac_f64_e32 v[82:83], v[118:119], v[80:81]
	v_fma_f64 v[80:81], v[68:69], v[72:73], -v[56:57]
	v_mul_f64 v[56:57], v[68:69], v[74:75]
	s_waitcnt vmcnt(7) lgkmcnt(3)
	v_mul_f64 v[68:69], v[38:39], v[78:79]
	v_fmac_f64_e32 v[56:57], v[70:71], v[72:73]
	v_fma_f64 v[74:75], v[36:37], v[76:77], -v[68:69]
	v_mul_f64 v[70:71], v[36:37], v[78:79]
	s_waitcnt vmcnt(6)
	v_mul_f64 v[36:37], v[66:67], v[114:115]
	v_fma_f64 v[68:69], v[64:65], v[112:113], -v[36:37]
	v_mul_f64 v[64:65], v[64:65], v[114:115]
	v_fmac_f64_e32 v[70:71], v[38:39], v[76:77]
	v_fmac_f64_e32 v[64:65], v[66:67], v[112:113]
	global_load_dwordx4 v[36:39], v171, s[8:9] offset:1200
	global_load_dwordx4 v[94:97], v171, s[8:9] offset:1184
	s_waitcnt vmcnt(6) lgkmcnt(1)
	v_mul_f64 v[66:67], v[22:23], v[184:185]
	v_fma_f64 v[128:129], v[20:21], v[182:183], -v[66:67]
	v_mul_f64 v[72:73], v[20:21], v[184:185]
	v_mul_f64 v[20:21], v[62:63], v[180:181]
	v_fma_f64 v[66:67], v[60:61], v[178:179], -v[20:21]
	v_mul_f64 v[60:61], v[60:61], v[180:181]
	v_fmac_f64_e32 v[72:73], v[22:23], v[182:183]
	v_fmac_f64_e32 v[60:61], v[62:63], v[178:179]
	global_load_dwordx4 v[20:23], v171, s[8:9] offset:1232
	global_load_dwordx4 v[110:113], v171, s[8:9] offset:1216
	ds_read_b128 v[178:181], v176 offset:52000
	s_mov_b32 s18, 0x9b97f4a8
	s_mov_b32 s19, 0x3fe9e377
	v_lshlrev_b32_e32 v136, 2, v136
	s_waitcnt vmcnt(7)
	v_mul_f64 v[62:63], v[26:27], v[50:51]
	v_fma_f64 v[140:141], v[24:25], v[48:49], -v[62:63]
	v_mul_f64 v[62:63], v[24:25], v[50:51]
	s_waitcnt vmcnt(6)
	v_mul_f64 v[24:25], v[14:15], v[106:107]
	v_fmac_f64_e32 v[62:63], v[26:27], v[48:49]
	v_fma_f64 v[50:51], v[12:13], v[104:105], -v[24:25]
	global_load_dwordx4 v[24:27], v171, s[8:9] offset:1248
	v_mul_f64 v[48:49], v[12:13], v[106:107]
	v_fmac_f64_e32 v[48:49], v[14:15], v[104:105]
	global_load_dwordx4 v[12:15], v171, s[8:9] offset:1264
	s_waitcnt vmcnt(6)
	v_mul_f64 v[76:77], v[18:19], v[188:189]
	v_mul_f64 v[102:103], v[16:17], v[188:189]
	v_fma_f64 v[98:99], v[16:17], v[186:187], -v[76:77]
	v_fmac_f64_e32 v[102:103], v[18:19], v[186:187]
	global_load_dwordx4 v[16:19], v171, s[8:9] offset:1280
	v_mul_f64 v[76:77], v[46:47], v[54:55]
	v_fma_f64 v[114:115], v[44:45], v[52:53], -v[76:77]
	v_mul_f64 v[104:105], v[44:45], v[54:55]
	ds_read_b128 v[76:79], v176 offset:2000
	v_fmac_f64_e32 v[104:105], v[46:47], v[52:53]
	s_waitcnt vmcnt(6)
	v_mul_f64 v[106:107], v[88:89], v[38:39]
	s_waitcnt vmcnt(5)
	v_mul_f64 v[44:45], v[10:11], v[96:97]
	v_fma_f64 v[92:93], v[8:9], v[94:95], -v[44:45]
	v_mul_f64 v[84:85], v[8:9], v[96:97]
	v_mul_f64 v[8:9], v[90:91], v[38:39]
	v_fmac_f64_e32 v[84:85], v[10:11], v[94:95]
	v_fma_f64 v[116:117], v[88:89], v[36:37], -v[8:9]
	v_fmac_f64_e32 v[106:107], v[90:91], v[36:37]
	ds_read_b128 v[36:39], v176
	ds_read_b128 v[8:11], v176 offset:58000
	s_waitcnt vmcnt(3) lgkmcnt(0)
	v_mul_f64 v[44:45], v[6:7], v[112:113]
	v_fma_f64 v[94:95], v[4:5], v[110:111], -v[44:45]
	v_mul_f64 v[86:87], v[4:5], v[112:113]
	v_mul_f64 v[4:5], v[192:193], v[22:23]
	v_fma_f64 v[118:119], v[190:191], v[20:21], -v[4:5]
	v_fmac_f64_e32 v[86:87], v[6:7], v[110:111]
	v_add_f64 v[6:7], v[154:155], -v[156:157]
	v_mul_f64 v[110:111], v[190:191], v[22:23]
	v_fmac_f64_e32 v[110:111], v[192:193], v[20:21]
	s_barrier
	s_waitcnt vmcnt(2)
	v_mul_f64 v[4:5], v[34:35], v[26:27]
	v_fma_f64 v[96:97], v[32:33], v[24:25], -v[4:5]
	v_mul_f64 v[88:89], v[32:33], v[26:27]
	s_waitcnt vmcnt(1)
	v_mul_f64 v[4:5], v[180:181], v[14:15]
	v_fma_f64 v[120:121], v[178:179], v[12:13], -v[4:5]
	v_fmac_f64_e32 v[88:89], v[34:35], v[24:25]
	v_mul_f64 v[112:113], v[178:179], v[14:15]
	v_fmac_f64_e32 v[112:113], v[180:181], v[12:13]
	s_waitcnt vmcnt(0)
	v_mul_f64 v[4:5], v[10:11], v[18:19]
	v_fma_f64 v[100:101], v[8:9], v[16:17], -v[4:5]
	v_add_f64 v[4:5], v[36:37], v[146:147]
	v_add_f64 v[4:5], v[4:5], v[160:161]
	;; [unrolled: 1-line block ×5, first 2 shown]
	v_mul_f64 v[90:91], v[8:9], v[18:19]
	v_fma_f64 v[26:27], -0.5, v[4:5], v[36:37]
	v_add_f64 v[4:5], v[142:143], -v[158:159]
	v_fmac_f64_e32 v[90:91], v[10:11], v[16:17]
	v_fma_f64 v[34:35], s[10:11], v[4:5], v[26:27]
	v_add_f64 v[8:9], v[146:147], -v[160:161]
	v_add_f64 v[10:11], v[164:165], -v[162:163]
	v_fmac_f64_e32 v[26:27], s[14:15], v[4:5]
	v_fmac_f64_e32 v[34:35], s[4:5], v[6:7]
	v_add_f64 v[8:9], v[8:9], v[10:11]
	v_fmac_f64_e32 v[26:27], s[16:17], v[6:7]
	v_fmac_f64_e32 v[34:35], s[12:13], v[8:9]
	v_fmac_f64_e32 v[26:27], s[12:13], v[8:9]
	v_add_f64 v[8:9], v[146:147], v[164:165]
	v_fmac_f64_e32 v[36:37], -0.5, v[8:9]
	v_fma_f64 v[52:53], s[14:15], v[6:7], v[36:37]
	v_fmac_f64_e32 v[36:37], s[10:11], v[6:7]
	v_fmac_f64_e32 v[52:53], s[4:5], v[4:5]
	v_fmac_f64_e32 v[36:37], s[16:17], v[4:5]
	v_add_f64 v[4:5], v[38:39], v[142:143]
	v_add_f64 v[4:5], v[4:5], v[154:155]
	v_add_f64 v[4:5], v[4:5], v[156:157]
	v_add_f64 v[8:9], v[160:161], -v[146:147]
	v_add_f64 v[10:11], v[162:163], -v[164:165]
	v_add_f64 v[44:45], v[4:5], v[158:159]
	v_add_f64 v[4:5], v[154:155], v[156:157]
	v_add_f64 v[8:9], v[8:9], v[10:11]
	v_fma_f64 v[46:47], -0.5, v[4:5], v[38:39]
	v_add_f64 v[4:5], v[146:147], -v[164:165]
	v_fmac_f64_e32 v[52:53], s[12:13], v[8:9]
	v_fmac_f64_e32 v[36:37], s[12:13], v[8:9]
	v_fma_f64 v[54:55], s[14:15], v[4:5], v[46:47]
	v_add_f64 v[6:7], v[160:161], -v[162:163]
	v_add_f64 v[8:9], v[142:143], -v[154:155]
	v_add_f64 v[10:11], v[158:159], -v[156:157]
	v_fmac_f64_e32 v[46:47], s[10:11], v[4:5]
	v_fmac_f64_e32 v[54:55], s[16:17], v[6:7]
	v_add_f64 v[8:9], v[8:9], v[10:11]
	v_fmac_f64_e32 v[46:47], s[4:5], v[6:7]
	v_fmac_f64_e32 v[54:55], s[12:13], v[8:9]
	v_fmac_f64_e32 v[46:47], s[12:13], v[8:9]
	v_add_f64 v[8:9], v[142:143], v[158:159]
	v_fmac_f64_e32 v[38:39], -0.5, v[8:9]
	v_fma_f64 v[146:147], s[10:11], v[6:7], v[38:39]
	v_fmac_f64_e32 v[38:39], s[14:15], v[6:7]
	v_fmac_f64_e32 v[146:147], s[16:17], v[4:5]
	v_fmac_f64_e32 v[38:39], s[4:5], v[4:5]
	v_add_f64 v[4:5], v[122:123], v[148:149]
	v_add_f64 v[4:5], v[4:5], v[150:151]
	v_add_f64 v[4:5], v[4:5], v[152:153]
	v_add_f64 v[8:9], v[154:155], -v[142:143]
	v_add_f64 v[10:11], v[156:157], -v[158:159]
	v_add_f64 v[32:33], v[4:5], v[30:31]
	v_add_f64 v[4:5], v[150:151], v[152:153]
	v_add_f64 v[8:9], v[8:9], v[10:11]
	v_fma_f64 v[22:23], -0.5, v[4:5], v[122:123]
	v_add_f64 v[4:5], v[144:145], -v[28:29]
	v_fmac_f64_e32 v[146:147], s[12:13], v[8:9]
	v_fmac_f64_e32 v[38:39], s[12:13], v[8:9]
	v_fma_f64 v[6:7], s[10:11], v[4:5], v[22:23]
	v_add_f64 v[8:9], v[42:43], -v[40:41]
	;; [unrolled: 28-line block ×3, first 2 shown]
	v_add_f64 v[12:13], v[144:145], -v[42:43]
	v_add_f64 v[14:15], v[28:29], -v[40:41]
	v_fmac_f64_e32 v[154:155], s[10:11], v[4:5]
	v_fmac_f64_e32 v[10:11], s[16:17], v[8:9]
	v_add_f64 v[12:13], v[12:13], v[14:15]
	v_fmac_f64_e32 v[154:155], s[4:5], v[8:9]
	v_fmac_f64_e32 v[10:11], s[12:13], v[12:13]
	;; [unrolled: 1-line block ×3, first 2 shown]
	v_add_f64 v[12:13], v[144:145], v[28:29]
	v_fmac_f64_e32 v[124:125], -0.5, v[12:13]
	v_fma_f64 v[30:31], s[10:11], v[8:9], v[124:125]
	v_add_f64 v[12:13], v[42:43], -v[144:145]
	v_add_f64 v[14:15], v[40:41], -v[28:29]
	v_fmac_f64_e32 v[124:125], s[14:15], v[8:9]
	v_add_f64 v[12:13], v[12:13], v[14:15]
	v_fmac_f64_e32 v[124:125], s[4:5], v[4:5]
	v_fmac_f64_e32 v[30:31], s[16:17], v[4:5]
	;; [unrolled: 1-line block ×3, first 2 shown]
	v_mul_f64 v[28:29], v[10:11], s[4:5]
	v_mul_f64 v[14:15], v[122:123], s[12:13]
	v_fmac_f64_e32 v[30:31], s[12:13], v[12:13]
	v_fmac_f64_e32 v[28:29], s[18:19], v[6:7]
	v_fma_f64 v[42:43], v[124:125], s[10:11], -v[14:15]
	v_mul_f64 v[14:15], v[22:23], s[18:19]
	v_add_f64 v[8:9], v[34:35], v[28:29]
	v_mul_f64 v[40:41], v[30:31], s[10:11]
	v_fma_f64 v[144:145], v[154:155], s[4:5], -v[14:15]
	v_add_f64 v[14:15], v[44:45], v[142:143]
	v_mul_f64 v[150:151], v[18:19], s[14:15]
	v_add_f64 v[28:29], v[34:35], -v[28:29]
	v_add_f64 v[34:35], v[44:45], -v[142:143]
	v_add_f64 v[44:45], v[76:77], v[126:127]
	v_fmac_f64_e32 v[40:41], s[12:13], v[18:19]
	v_fmac_f64_e32 v[150:151], s[12:13], v[30:31]
	v_mul_f64 v[18:19], v[124:125], s[12:13]
	v_mul_f64 v[30:31], v[154:155], s[18:19]
	v_add_f64 v[44:45], v[44:45], v[74:75]
	v_fma_f64 v[122:123], v[122:123], s[14:15], -v[18:19]
	v_fma_f64 v[124:125], v[22:23], s[16:17], -v[30:31]
	v_add_f64 v[44:45], v[44:45], v[128:129]
	v_add_f64 v[12:13], v[24:25], v[32:33]
	;; [unrolled: 1-line block ×4, first 2 shown]
	v_mul_f64 v[148:149], v[6:7], s[16:17]
	v_add_f64 v[18:19], v[38:39], v[122:123]
	v_add_f64 v[22:23], v[46:47], v[124:125]
	v_add_f64 v[32:33], v[24:25], -v[32:33]
	v_add_f64 v[24:25], v[52:53], -v[40:41]
	;; [unrolled: 1-line block ×5, first 2 shown]
	v_add_f64 v[124:125], v[44:45], v[140:141]
	v_add_f64 v[44:45], v[74:75], v[128:129]
	v_fmac_f64_e32 v[148:149], s[18:19], v[10:11]
	v_fma_f64 v[122:123], -0.5, v[44:45], v[76:77]
	v_add_f64 v[44:45], v[82:83], -v[62:63]
	v_add_f64 v[10:11], v[54:55], v[148:149]
	v_add_f64 v[30:31], v[54:55], -v[148:149]
	v_fma_f64 v[142:143], s[10:11], v[44:45], v[122:123]
	v_add_f64 v[46:47], v[70:71], -v[72:73]
	v_add_f64 v[52:53], v[126:127], -v[74:75]
	v_add_f64 v[54:55], v[140:141], -v[128:129]
	v_fmac_f64_e32 v[122:123], s[14:15], v[44:45]
	v_fmac_f64_e32 v[142:143], s[4:5], v[46:47]
	v_add_f64 v[52:53], v[52:53], v[54:55]
	v_fmac_f64_e32 v[122:123], s[16:17], v[46:47]
	v_fmac_f64_e32 v[142:143], s[12:13], v[52:53]
	;; [unrolled: 1-line block ×3, first 2 shown]
	v_add_f64 v[52:53], v[126:127], v[140:141]
	v_fmac_f64_e32 v[76:77], -0.5, v[52:53]
	v_fma_f64 v[148:149], s[14:15], v[46:47], v[76:77]
	v_fmac_f64_e32 v[76:77], s[10:11], v[46:47]
	v_fmac_f64_e32 v[148:149], s[4:5], v[44:45]
	;; [unrolled: 1-line block ×3, first 2 shown]
	v_add_f64 v[44:45], v[78:79], v[82:83]
	v_add_f64 v[44:45], v[44:45], v[70:71]
	;; [unrolled: 1-line block ×4, first 2 shown]
	v_add_f64 v[36:37], v[26:27], -v[144:145]
	v_add_f64 v[52:53], v[74:75], -v[126:127]
	;; [unrolled: 1-line block ×3, first 2 shown]
	v_add_f64 v[144:145], v[44:45], v[62:63]
	v_add_f64 v[44:45], v[70:71], v[72:73]
	;; [unrolled: 1-line block ×3, first 2 shown]
	v_add_f64 v[26:27], v[146:147], -v[150:151]
	v_add_f64 v[52:53], v[52:53], v[54:55]
	v_fma_f64 v[146:147], -0.5, v[44:45], v[78:79]
	v_add_f64 v[44:45], v[126:127], -v[140:141]
	v_fmac_f64_e32 v[148:149], s[12:13], v[52:53]
	v_fmac_f64_e32 v[76:77], s[12:13], v[52:53]
	v_fma_f64 v[126:127], s[14:15], v[44:45], v[146:147]
	v_add_f64 v[46:47], v[74:75], -v[128:129]
	v_add_f64 v[52:53], v[82:83], -v[70:71]
	;; [unrolled: 1-line block ×3, first 2 shown]
	v_fmac_f64_e32 v[146:147], s[10:11], v[44:45]
	v_fmac_f64_e32 v[126:127], s[16:17], v[46:47]
	v_add_f64 v[52:53], v[52:53], v[54:55]
	v_fmac_f64_e32 v[146:147], s[4:5], v[46:47]
	v_fmac_f64_e32 v[126:127], s[12:13], v[52:53]
	;; [unrolled: 1-line block ×3, first 2 shown]
	v_add_f64 v[52:53], v[82:83], v[62:63]
	v_fmac_f64_e32 v[78:79], -0.5, v[52:53]
	v_fma_f64 v[128:129], s[10:11], v[46:47], v[78:79]
	v_fmac_f64_e32 v[78:79], s[14:15], v[46:47]
	v_fmac_f64_e32 v[128:129], s[16:17], v[44:45]
	;; [unrolled: 1-line block ×3, first 2 shown]
	v_add_f64 v[44:45], v[58:59], v[80:81]
	v_add_f64 v[44:45], v[44:45], v[68:69]
	;; [unrolled: 1-line block ×3, first 2 shown]
	v_add_f64 v[52:53], v[70:71], -v[82:83]
	v_add_f64 v[54:55], v[72:73], -v[62:63]
	v_add_f64 v[70:71], v[44:45], v[50:51]
	v_add_f64 v[44:45], v[68:69], v[66:67]
	;; [unrolled: 1-line block ×3, first 2 shown]
	v_fma_f64 v[62:63], -0.5, v[44:45], v[58:59]
	v_add_f64 v[44:45], v[56:57], -v[48:49]
	v_fmac_f64_e32 v[128:129], s[12:13], v[52:53]
	v_fmac_f64_e32 v[78:79], s[12:13], v[52:53]
	v_fma_f64 v[46:47], s[10:11], v[44:45], v[62:63]
	v_add_f64 v[52:53], v[64:65], -v[60:61]
	v_add_f64 v[54:55], v[80:81], -v[68:69]
	;; [unrolled: 1-line block ×3, first 2 shown]
	v_fmac_f64_e32 v[62:63], s[14:15], v[44:45]
	v_fmac_f64_e32 v[46:47], s[4:5], v[52:53]
	v_add_f64 v[54:55], v[54:55], v[72:73]
	v_fmac_f64_e32 v[62:63], s[16:17], v[52:53]
	v_fmac_f64_e32 v[46:47], s[12:13], v[54:55]
	;; [unrolled: 1-line block ×3, first 2 shown]
	v_add_f64 v[54:55], v[80:81], v[50:51]
	v_fmac_f64_e32 v[58:59], -0.5, v[54:55]
	v_fma_f64 v[72:73], s[14:15], v[52:53], v[58:59]
	v_fmac_f64_e32 v[58:59], s[10:11], v[52:53]
	v_fmac_f64_e32 v[72:73], s[4:5], v[44:45]
	;; [unrolled: 1-line block ×3, first 2 shown]
	v_add_f64 v[44:45], v[108:109], v[56:57]
	v_add_f64 v[44:45], v[44:45], v[64:65]
	v_add_f64 v[54:55], v[68:69], -v[80:81]
	v_add_f64 v[74:75], v[66:67], -v[50:51]
	v_add_f64 v[44:45], v[44:45], v[60:61]
	v_add_f64 v[54:55], v[54:55], v[74:75]
	;; [unrolled: 1-line block ×4, first 2 shown]
	v_fma_f64 v[82:83], -0.5, v[44:45], v[108:109]
	v_add_f64 v[44:45], v[80:81], -v[50:51]
	v_fmac_f64_e32 v[72:73], s[12:13], v[54:55]
	v_fmac_f64_e32 v[58:59], s[12:13], v[54:55]
	v_fma_f64 v[50:51], s[14:15], v[44:45], v[82:83]
	v_add_f64 v[52:53], v[68:69], -v[66:67]
	v_add_f64 v[54:55], v[56:57], -v[64:65]
	;; [unrolled: 1-line block ×3, first 2 shown]
	v_fmac_f64_e32 v[82:83], s[10:11], v[44:45]
	v_fmac_f64_e32 v[50:51], s[16:17], v[52:53]
	v_add_f64 v[54:55], v[54:55], v[66:67]
	v_fmac_f64_e32 v[82:83], s[4:5], v[52:53]
	v_fmac_f64_e32 v[50:51], s[12:13], v[54:55]
	;; [unrolled: 1-line block ×3, first 2 shown]
	v_add_f64 v[54:55], v[56:57], v[48:49]
	v_fmac_f64_e32 v[108:109], -0.5, v[54:55]
	v_fma_f64 v[66:67], s[10:11], v[52:53], v[108:109]
	v_add_f64 v[54:55], v[64:65], -v[56:57]
	v_add_f64 v[48:49], v[60:61], -v[48:49]
	v_fmac_f64_e32 v[108:109], s[14:15], v[52:53]
	v_fmac_f64_e32 v[66:67], s[16:17], v[44:45]
	v_add_f64 v[48:49], v[54:55], v[48:49]
	v_fmac_f64_e32 v[108:109], s[4:5], v[44:45]
	v_fmac_f64_e32 v[66:67], s[12:13], v[48:49]
	v_fmac_f64_e32 v[108:109], s[12:13], v[48:49]
	v_mul_f64 v[54:55], v[58:59], s[12:13]
	v_mul_f64 v[64:65], v[50:51], s[4:5]
	;; [unrolled: 1-line block ×3, first 2 shown]
	v_fma_f64 v[140:141], v[108:109], s[10:11], -v[54:55]
	v_mul_f64 v[54:55], v[62:63], s[18:19]
	v_fmac_f64_e32 v[64:65], s[18:19], v[46:47]
	v_fmac_f64_e32 v[80:81], s[12:13], v[72:73]
	v_fma_f64 v[150:151], v[82:83], s[4:5], -v[54:55]
	v_mul_f64 v[154:155], v[72:73], s[14:15]
	v_add_f64 v[48:49], v[142:143], v[64:65]
	v_add_f64 v[44:45], v[148:149], v[80:81]
	;; [unrolled: 1-line block ×3, first 2 shown]
	v_mul_f64 v[152:153], v[46:47], s[16:17]
	v_add_f64 v[60:61], v[122:123], v[150:151]
	v_fmac_f64_e32 v[154:155], s[12:13], v[66:67]
	v_mul_f64 v[66:67], v[108:109], s[12:13]
	v_add_f64 v[68:69], v[142:143], -v[64:65]
	v_add_f64 v[64:65], v[148:149], -v[80:81]
	;; [unrolled: 1-line block ×4, first 2 shown]
	v_add_f64 v[122:123], v[116:117], v[118:119]
	v_add_f64 v[52:53], v[124:125], v[70:71]
	v_fmac_f64_e32 v[152:153], s[18:19], v[50:51]
	v_fma_f64 v[108:109], v[58:59], s[14:15], -v[66:67]
	v_mul_f64 v[66:67], v[82:83], s[18:19]
	v_add_f64 v[72:73], v[124:125], -v[70:71]
	v_fma_f64 v[124:125], -0.5, v[122:123], v[0:1]
	v_add_f64 v[122:123], v[104:105], -v[112:113]
	v_add_f64 v[50:51], v[126:127], v[152:153]
	v_add_f64 v[46:47], v[128:129], v[154:155]
	v_fma_f64 v[156:157], v[62:63], s[16:17], -v[66:67]
	v_add_f64 v[70:71], v[126:127], -v[152:153]
	v_add_f64 v[66:67], v[128:129], -v[154:155]
	v_fma_f64 v[126:127], s[10:11], v[122:123], v[124:125]
	v_add_f64 v[128:129], v[106:107], -v[110:111]
	v_add_f64 v[140:141], v[114:115], -v[116:117]
	;; [unrolled: 1-line block ×3, first 2 shown]
	v_fmac_f64_e32 v[124:125], s[14:15], v[122:123]
	v_fmac_f64_e32 v[126:127], s[4:5], v[128:129]
	v_add_f64 v[140:141], v[140:141], v[142:143]
	v_fmac_f64_e32 v[124:125], s[16:17], v[128:129]
	v_fmac_f64_e32 v[126:127], s[12:13], v[140:141]
	;; [unrolled: 1-line block ×3, first 2 shown]
	v_add_f64 v[140:141], v[114:115], v[120:121]
	v_add_f64 v[58:59], v[78:79], v[108:109]
	v_add_f64 v[82:83], v[78:79], -v[108:109]
	v_add_f64 v[108:109], v[0:1], v[114:115]
	v_fmac_f64_e32 v[0:1], -0.5, v[140:141]
	v_fma_f64 v[140:141], s[14:15], v[128:129], v[0:1]
	v_fmac_f64_e32 v[0:1], s[10:11], v[128:129]
	v_fmac_f64_e32 v[140:141], s[4:5], v[122:123]
	;; [unrolled: 1-line block ×3, first 2 shown]
	v_add_f64 v[122:123], v[2:3], v[104:105]
	v_add_f64 v[122:123], v[122:123], v[106:107]
	;; [unrolled: 1-line block ×4, first 2 shown]
	v_add_f64 v[74:75], v[144:145], -v[74:75]
	v_add_f64 v[108:109], v[108:109], v[116:117]
	v_add_f64 v[142:143], v[116:117], -v[114:115]
	v_add_f64 v[144:145], v[118:119], -v[120:121]
	v_add_f64 v[128:129], v[122:123], v[112:113]
	v_add_f64 v[122:123], v[106:107], v[110:111]
	;; [unrolled: 1-line block ×4, first 2 shown]
	v_fma_f64 v[122:123], -0.5, v[122:123], v[2:3]
	v_add_f64 v[114:115], v[114:115], -v[120:121]
	v_add_f64 v[108:109], v[108:109], v[120:121]
	v_fmac_f64_e32 v[140:141], s[12:13], v[142:143]
	v_fmac_f64_e32 v[0:1], s[12:13], v[142:143]
	v_fma_f64 v[120:121], s[14:15], v[114:115], v[122:123]
	v_add_f64 v[116:117], v[116:117], -v[118:119]
	v_add_f64 v[118:119], v[104:105], -v[106:107]
	;; [unrolled: 1-line block ×3, first 2 shown]
	v_fmac_f64_e32 v[122:123], s[10:11], v[114:115]
	v_fmac_f64_e32 v[120:121], s[16:17], v[116:117]
	v_add_f64 v[118:119], v[118:119], v[142:143]
	v_fmac_f64_e32 v[122:123], s[4:5], v[116:117]
	v_fmac_f64_e32 v[120:121], s[12:13], v[118:119]
	;; [unrolled: 1-line block ×3, first 2 shown]
	v_add_f64 v[118:119], v[104:105], v[112:113]
	v_add_f64 v[104:105], v[106:107], -v[104:105]
	v_add_f64 v[106:107], v[110:111], -v[112:113]
	v_fmac_f64_e32 v[2:3], -0.5, v[118:119]
	v_add_f64 v[104:105], v[104:105], v[106:107]
	v_add_f64 v[106:107], v[94:95], v[96:97]
	v_fma_f64 v[118:119], s[10:11], v[116:117], v[2:3]
	v_fmac_f64_e32 v[2:3], s[14:15], v[116:117]
	v_fma_f64 v[106:107], -0.5, v[106:107], v[98:99]
	v_add_f64 v[110:111], v[84:85], -v[90:91]
	v_fmac_f64_e32 v[118:119], s[16:17], v[114:115]
	v_fmac_f64_e32 v[2:3], s[4:5], v[114:115]
	v_fma_f64 v[112:113], s[10:11], v[110:111], v[106:107]
	v_add_f64 v[114:115], v[86:87], -v[88:89]
	v_add_f64 v[116:117], v[92:93], -v[94:95]
	v_add_f64 v[142:143], v[100:101], -v[96:97]
	v_fmac_f64_e32 v[106:107], s[14:15], v[110:111]
	v_fmac_f64_e32 v[112:113], s[4:5], v[114:115]
	v_add_f64 v[116:117], v[116:117], v[142:143]
	v_fmac_f64_e32 v[106:107], s[16:17], v[114:115]
	v_fmac_f64_e32 v[112:113], s[12:13], v[116:117]
	;; [unrolled: 1-line block ×3, first 2 shown]
	v_add_f64 v[116:117], v[92:93], v[100:101]
	v_fmac_f64_e32 v[118:119], s[12:13], v[104:105]
	v_fmac_f64_e32 v[2:3], s[12:13], v[104:105]
	v_add_f64 v[104:105], v[98:99], v[92:93]
	v_fmac_f64_e32 v[98:99], -0.5, v[116:117]
	v_add_f64 v[104:105], v[104:105], v[94:95]
	v_fma_f64 v[116:117], s[14:15], v[114:115], v[98:99]
	v_add_f64 v[142:143], v[94:95], -v[92:93]
	v_add_f64 v[144:145], v[96:97], -v[100:101]
	v_fmac_f64_e32 v[98:99], s[10:11], v[114:115]
	v_add_f64 v[114:115], v[86:87], v[88:89]
	v_add_f64 v[104:105], v[104:105], v[96:97]
	v_fmac_f64_e32 v[116:117], s[4:5], v[110:111]
	v_add_f64 v[142:143], v[142:143], v[144:145]
	v_fmac_f64_e32 v[98:99], s[16:17], v[110:111]
	v_fma_f64 v[114:115], -0.5, v[114:115], v[102:103]
	v_add_f64 v[92:93], v[92:93], -v[100:101]
	v_add_f64 v[104:105], v[104:105], v[100:101]
	v_fmac_f64_e32 v[116:117], s[12:13], v[142:143]
	v_fmac_f64_e32 v[98:99], s[12:13], v[142:143]
	v_fma_f64 v[100:101], s[14:15], v[92:93], v[114:115]
	v_add_f64 v[94:95], v[94:95], -v[96:97]
	v_add_f64 v[96:97], v[84:85], -v[86:87]
	;; [unrolled: 1-line block ×3, first 2 shown]
	v_fmac_f64_e32 v[114:115], s[10:11], v[92:93]
	v_fmac_f64_e32 v[100:101], s[16:17], v[94:95]
	v_add_f64 v[96:97], v[96:97], v[142:143]
	v_fmac_f64_e32 v[114:115], s[4:5], v[94:95]
	v_fmac_f64_e32 v[100:101], s[12:13], v[96:97]
	;; [unrolled: 1-line block ×3, first 2 shown]
	v_add_f64 v[96:97], v[84:85], v[90:91]
	v_add_f64 v[110:111], v[102:103], v[84:85]
	v_fmac_f64_e32 v[102:103], -0.5, v[96:97]
	v_add_f64 v[110:111], v[110:111], v[86:87]
	v_fma_f64 v[142:143], s[10:11], v[94:95], v[102:103]
	v_add_f64 v[84:85], v[86:87], -v[84:85]
	v_add_f64 v[86:87], v[88:89], -v[90:91]
	v_fmac_f64_e32 v[102:103], s[14:15], v[94:95]
	v_add_f64 v[84:85], v[84:85], v[86:87]
	v_fmac_f64_e32 v[102:103], s[4:5], v[92:93]
	v_fmac_f64_e32 v[102:103], s[12:13], v[84:85]
	v_mul_f64 v[86:87], v[98:99], s[12:13]
	v_add_f64 v[110:111], v[110:111], v[88:89]
	v_mul_f64 v[144:145], v[100:101], s[4:5]
	v_fma_f64 v[148:149], v[102:103], s[10:11], -v[86:87]
	v_mul_f64 v[152:153], v[112:113], s[16:17]
	v_mul_f64 v[102:103], v[102:103], s[12:13]
	v_add_f64 v[62:63], v[146:147], v[156:157]
	v_add_f64 v[78:79], v[146:147], -v[156:157]
	v_add_f64 v[110:111], v[110:111], v[90:91]
	v_fmac_f64_e32 v[144:145], s[18:19], v[112:113]
	v_mul_f64 v[86:87], v[106:107], s[18:19]
	v_fmac_f64_e32 v[152:153], s[18:19], v[100:101]
	v_fma_f64 v[156:157], v[98:99], s[14:15], -v[102:103]
	v_mul_f64 v[102:103], v[114:115], s[18:19]
	s_movk_i32 s18, 0x4a
	v_fma_f64 v[150:151], v[114:115], s[4:5], -v[86:87]
	v_add_f64 v[94:95], v[128:129], v[110:111]
	v_add_f64 v[90:91], v[120:121], v[152:153]
	v_add_f64 v[114:115], v[128:129], -v[110:111]
	v_add_f64 v[110:111], v[120:121], -v[152:153]
	v_mov_b32_e32 v120, 0x2ee0
	v_cmp_lt_u32_e32 vcc, s18, v132
	v_lshlrev_b32_e32 v121, 4, v166
	v_fmac_f64_e32 v[142:143], s[16:17], v[92:93]
	v_cndmask_b32_e32 v120, 0, v120, vcc
	v_add3_u32 v120, 0, v120, v121
	ds_write_b128 v120, v[12:15]
	ds_write_b128 v120, v[8:11] offset:1200
	ds_write_b128 v120, v[4:7] offset:2400
	ds_write_b128 v120, v[16:19] offset:3600
	ds_write_b128 v120, v[20:23] offset:4800
	ds_write_b128 v120, v[32:35] offset:6000
	ds_write_b128 v120, v[28:31] offset:7200
	ds_write_b128 v120, v[24:27] offset:8400
	ds_write_b128 v120, v[40:43] offset:9600
	ds_write_b128 v120, v[36:39] offset:10800
	v_mul_u32_u24_e32 v4, 0x2ee0, v168
	v_lshlrev_b32_sdwa v5, v174, v167 dst_sel:DWORD dst_unused:UNUSED_PAD src0_sel:DWORD src1_sel:BYTE_0
	v_fmac_f64_e32 v[142:143], s[12:13], v[84:85]
	v_add3_u32 v4, 0, v4, v5
	v_mul_f64 v[146:147], v[142:143], s[10:11]
	v_mul_f64 v[154:155], v[116:117], s[14:15]
	ds_write_b128 v4, v[52:55]
	ds_write_b128 v4, v[48:51] offset:1200
	ds_write_b128 v4, v[44:47] offset:2400
	ds_write_b128 v4, v[56:59] offset:3600
	ds_write_b128 v4, v[60:63] offset:4800
	ds_write_b128 v4, v[72:75] offset:6000
	ds_write_b128 v4, v[68:71] offset:7200
	ds_write_b128 v4, v[64:67] offset:8400
	ds_write_b128 v4, v[80:83] offset:9600
	ds_write_b128 v4, v[76:79] offset:10800
	v_mul_u32_u24_e32 v4, 0x2ee0, v169
	v_lshlrev_b32_e32 v5, 4, v170
	v_add_f64 v[92:93], v[108:109], v[104:105]
	v_fmac_f64_e32 v[146:147], s[12:13], v[116:117]
	v_add_f64 v[96:97], v[0:1], v[148:149]
	v_fmac_f64_e32 v[154:155], s[12:13], v[142:143]
	v_fma_f64 v[142:143], v[106:107], s[16:17], -v[102:103]
	v_add_f64 v[116:117], v[0:1], -v[148:149]
	v_add_f64 v[0:1], v[124:125], -v[150:151]
	v_add3_u32 v4, 0, v4, v5
	v_add_f64 v[88:89], v[126:127], v[144:145]
	v_add_f64 v[84:85], v[140:141], v[146:147]
	;; [unrolled: 1-line block ×6, first 2 shown]
	v_add_f64 v[112:113], v[108:109], -v[104:105]
	v_add_f64 v[108:109], v[126:127], -v[144:145]
	;; [unrolled: 1-line block ×6, first 2 shown]
	ds_write_b128 v4, v[92:95]
	ds_write_b128 v4, v[88:91] offset:1200
	ds_write_b128 v4, v[84:87] offset:2400
	ds_write_b128 v4, v[96:99] offset:3600
	ds_write_b128 v4, v[100:103] offset:4800
	ds_write_b128 v4, v[112:115] offset:6000
	ds_write_b128 v4, v[108:111] offset:7200
	ds_write_b128 v4, v[104:107] offset:8400
	ds_write_b128 v4, v[116:119] offset:9600
	ds_write_b128 v4, v[0:3] offset:10800
	v_lshlrev_b32_e32 v0, 2, v132
	v_mov_b32_e32 v1, v137
	v_lshl_add_u64 v[0:1], v[0:1], 4, s[8:9]
	v_add_co_u32_e32 v2, vcc, s20, v0
	s_waitcnt lgkmcnt(0)
	s_nop 0
	v_addc_co_u32_e32 v3, vcc, 0, v1, vcc
	s_barrier
	global_load_dwordx4 v[92:95], v[2:3], off offset:3760
	s_mov_b64 s[18:19], 0x2eb0
	v_lshl_add_u64 v[0:1], v[0:1], 0, s[18:19]
	global_load_dwordx4 v[100:103], v[0:1], off offset:16
	global_load_dwordx4 v[96:99], v[0:1], off offset:32
	;; [unrolled: 1-line block ×3, first 2 shown]
	v_lshlrev_b32_e32 v0, 2, v173
	v_mov_b32_e32 v1, v137
	v_lshl_add_u64 v[0:1], v[0:1], 4, s[8:9]
	v_add_co_u32_e32 v2, vcc, s20, v0
	v_lshl_add_u64 v[24:25], v[0:1], 0, s[18:19]
	s_nop 0
	v_addc_co_u32_e32 v3, vcc, 0, v1, vcc
	global_load_dwordx4 v[12:15], v[2:3], off offset:3760
	ds_read_b128 v[16:19], v176 offset:14000
	ds_read_b128 v[20:23], v176 offset:16000
	global_load_dwordx4 v[36:39], v[24:25], off offset:32
	global_load_dwordx4 v[68:71], v[24:25], off offset:16
	ds_read_b128 v[72:75], v176 offset:26000
	ds_read_b128 v[48:51], v176 offset:28000
	;; [unrolled: 1-line block ×6, first 2 shown]
	ds_read_b128 v[8:11], v133
	ds_read_b128 v[4:7], v177
	ds_read_b128 v[106:109], v176 offset:12000
	ds_read_b128 v[0:3], v176 offset:10000
	global_load_dwordx4 v[64:67], v[24:25], off offset:48
	v_lshl_add_u64 v[24:25], v[136:137], 4, s[8:9]
	v_add_co_u32_e32 v26, vcc, s20, v24
	v_lshl_add_u64 v[84:85], v[24:25], 0, s[18:19]
	s_nop 0
	v_addc_co_u32_e32 v27, vcc, 0, v25, vcc
	global_load_dwordx4 v[80:83], v[26:27], off offset:3760
	v_lshlrev_b32_e32 v136, 2, v138
	global_load_dwordx4 v[76:79], v[84:85], off offset:32
	global_load_dwordx4 v[88:91], v[84:85], off offset:16
	ds_read_b128 v[116:119], v176 offset:24000
	ds_read_b128 v[32:35], v176 offset:22000
	ds_read_b128 v[126:129], v176 offset:36000
	ds_read_b128 v[28:31], v176 offset:34000
	ds_read_b128 v[142:145], v176 offset:48000
	ds_read_b128 v[24:27], v176 offset:46000
	s_waitcnt vmcnt(10) lgkmcnt(7)
	v_mul_f64 v[86:87], v[108:109], v[94:95]
	v_mul_f64 v[120:121], v[106:107], v[94:95]
	v_lshl_add_u64 v[94:95], v[136:137], 4, s[8:9]
	v_add_co_u32_e32 v104, vcc, s20, v94
	v_fma_f64 v[114:115], v[106:107], v[92:93], -v[86:87]
	global_load_dwordx4 v[84:87], v[84:85], off offset:48
	v_addc_co_u32_e32 v105, vcc, 0, v95, vcc
	global_load_dwordx4 v[104:107], v[104:105], off offset:3760
	v_lshl_add_u64 v[112:113], v[94:95], 0, s[18:19]
	v_fmac_f64_e32 v[120:121], v[108:109], v[92:93]
	global_load_dwordx4 v[92:95], v[112:113], off offset:32
	global_load_dwordx4 v[108:111], v[112:113], off offset:16
	s_waitcnt vmcnt(13) lgkmcnt(5)
	v_mul_f64 v[122:123], v[118:119], v[102:103]
	v_mul_f64 v[102:103], v[116:117], v[102:103]
	v_fma_f64 v[122:123], v[116:117], v[100:101], -v[122:123]
	v_fmac_f64_e32 v[102:103], v[118:119], v[100:101]
	s_waitcnt vmcnt(12) lgkmcnt(3)
	v_mul_f64 v[100:101], v[128:129], v[98:99]
	v_fma_f64 v[124:125], v[126:127], v[96:97], -v[100:101]
	v_mul_f64 v[100:101], v[126:127], v[98:99]
	v_lshlrev_b32_e32 v136, 2, v139
	v_fmac_f64_e32 v[100:101], v[128:129], v[96:97]
	global_load_dwordx4 v[96:99], v[112:113], off offset:48
	v_lshl_add_u64 v[112:113], v[136:137], 4, s[8:9]
	v_add_co_u32_e32 v116, vcc, s20, v112
	s_waitcnt vmcnt(12) lgkmcnt(1)
	v_mul_f64 v[126:127], v[144:145], v[54:55]
	v_lshlrev_b32_e32 v136, 2, v172
	v_addc_co_u32_e32 v117, vcc, 0, v113, vcc
	v_lshl_add_u64 v[112:113], v[112:113], 0, s[18:19]
	v_fma_f64 v[140:141], v[142:143], v[52:53], -v[126:127]
	v_mul_f64 v[126:127], v[142:143], v[54:55]
	v_lshl_add_u64 v[54:55], v[136:137], 4, s[8:9]
	global_load_dwordx4 v[116:119], v[116:117], off offset:3760
	s_nop 0
	global_load_dwordx4 v[146:149], v[112:113], off offset:32
	global_load_dwordx4 v[152:155], v[112:113], off offset:16
	global_load_dwordx4 v[178:181], v[112:113], off offset:48
	v_add_co_u32_e32 v112, vcc, s20, v54
	v_fmac_f64_e32 v[126:127], v[144:145], v[52:53]
	s_waitcnt vmcnt(15)
	v_mul_f64 v[52:53], v[18:19], v[14:15]
	v_addc_co_u32_e32 v113, vcc, 0, v55, vcc
	global_load_dwordx4 v[182:185], v[112:113], off offset:3760
	v_fma_f64 v[164:165], v[16:17], v[12:13], -v[52:53]
	v_lshl_add_u64 v[52:53], v[54:55], 0, s[18:19]
	global_load_dwordx4 v[186:189], v[52:53], off offset:32
	global_load_dwordx4 v[190:193], v[52:53], off offset:16
	;; [unrolled: 1-line block ×3, first 2 shown]
	v_mul_f64 v[166:167], v[16:17], v[14:15]
	v_fmac_f64_e32 v[166:167], v[18:19], v[12:13]
	s_waitcnt vmcnt(17)
	v_mul_f64 v[12:13], v[74:75], v[70:71]
	v_mul_f64 v[70:71], v[72:73], v[70:71]
	v_fma_f64 v[170:171], v[72:73], v[68:69], -v[12:13]
	v_fmac_f64_e32 v[70:71], v[74:75], v[68:69]
	v_mul_f64 v[52:53], v[62:63], v[38:39]
	v_mul_f64 v[68:69], v[60:61], v[38:39]
	v_fma_f64 v[172:173], v[60:61], v[36:37], -v[52:53]
	v_fmac_f64_e32 v[68:69], v[62:63], v[36:37]
	s_waitcnt vmcnt(16)
	v_mul_f64 v[36:37], v[58:59], v[66:67]
	ds_read_b128 v[16:19], v176 offset:2000
	ds_read_b128 v[12:15], v176 offset:8000
	v_fma_f64 v[174:175], v[56:57], v[64:65], -v[36:37]
	v_mul_f64 v[168:169], v[56:57], v[66:67]
	ds_read_b128 v[36:39], v176 offset:18000
	ds_read_b128 v[52:55], v176 offset:20000
	s_waitcnt vmcnt(15)
	v_mul_f64 v[56:57], v[22:23], v[82:83]
	v_fma_f64 v[156:157], v[20:21], v[80:81], -v[56:57]
	v_mul_f64 v[72:73], v[20:21], v[82:83]
	s_waitcnt vmcnt(13)
	v_mul_f64 v[20:21], v[50:51], v[90:91]
	v_fmac_f64_e32 v[168:169], v[58:59], v[64:65]
	v_fmac_f64_e32 v[72:73], v[22:23], v[80:81]
	v_fma_f64 v[82:83], v[48:49], v[88:89], -v[20:21]
	v_mul_f64 v[144:145], v[48:49], v[90:91]
	ds_read_b128 v[20:23], v176 offset:30000
	ds_read_b128 v[56:59], v176 offset:32000
	v_mul_f64 v[48:49], v[46:47], v[78:79]
	v_fma_f64 v[160:161], v[44:45], v[76:77], -v[48:49]
	v_mul_f64 v[150:151], v[44:45], v[78:79]
	v_fmac_f64_e32 v[150:151], v[46:47], v[76:77]
	v_fmac_f64_e32 v[144:145], v[50:51], v[88:89]
	s_waitcnt vmcnt(12)
	v_mul_f64 v[44:45], v[42:43], v[86:87]
	v_fma_f64 v[90:91], v[40:41], v[84:85], -v[44:45]
	v_mul_f64 v[86:87], v[40:41], v[86:87]
	s_waitcnt vmcnt(11) lgkmcnt(3)
	v_mul_f64 v[40:41], v[38:39], v[106:107]
	v_fmac_f64_e32 v[86:87], v[42:43], v[84:85]
	ds_read_b128 v[42:45], v176 offset:42000
	ds_read_b128 v[64:67], v176 offset:44000
	v_fma_f64 v[60:61], v[36:37], v[104:105], -v[40:41]
	v_mul_f64 v[36:37], v[36:37], v[106:107]
	v_fmac_f64_e32 v[36:37], v[38:39], v[104:105]
	s_waitcnt vmcnt(9) lgkmcnt(3)
	v_mul_f64 v[38:39], v[22:23], v[110:111]
	v_mul_f64 v[40:41], v[20:21], v[110:111]
	v_fma_f64 v[62:63], v[20:21], v[108:109], -v[38:39]
	v_fmac_f64_e32 v[40:41], v[22:23], v[108:109]
	ds_read_b128 v[20:23], v176 offset:54000
	ds_read_b128 v[76:79], v176 offset:56000
	s_waitcnt lgkmcnt(3)
	v_mul_f64 v[38:39], v[44:45], v[94:95]
	v_fma_f64 v[128:129], v[42:43], v[92:93], -v[38:39]
	v_mul_f64 v[42:43], v[42:43], v[94:95]
	v_fmac_f64_e32 v[42:43], v[44:45], v[92:93]
	s_waitcnt vmcnt(8) lgkmcnt(1)
	v_mul_f64 v[38:39], v[22:23], v[98:99]
	v_mul_f64 v[44:45], v[20:21], v[98:99]
	v_fma_f64 v[74:75], v[20:21], v[96:97], -v[38:39]
	v_fmac_f64_e32 v[44:45], v[22:23], v[96:97]
	ds_read_b128 v[20:23], v176
	ds_read_b128 v[92:95], v176 offset:58000
	s_waitcnt lgkmcnt(0)
	s_barrier
	s_waitcnt vmcnt(7)
	v_mul_f64 v[38:39], v[54:55], v[118:119]
	v_fma_f64 v[38:39], v[52:53], v[116:117], -v[38:39]
	v_mul_f64 v[48:49], v[52:53], v[118:119]
	s_waitcnt vmcnt(5)
	v_mul_f64 v[46:47], v[58:59], v[154:155]
	v_mul_f64 v[52:53], v[66:67], v[148:149]
	v_fma_f64 v[46:47], v[56:57], v[152:153], -v[46:47]
	v_mul_f64 v[50:51], v[56:57], v[154:155]
	v_fma_f64 v[56:57], v[64:65], v[146:147], -v[52:53]
	v_mul_f64 v[52:53], v[64:65], v[148:149]
	s_waitcnt vmcnt(3)
	v_mul_f64 v[64:65], v[34:35], v[184:185]
	v_fma_f64 v[148:149], v[32:33], v[182:183], -v[64:65]
	v_mul_f64 v[138:139], v[32:33], v[184:185]
	s_waitcnt vmcnt(1)
	v_mul_f64 v[32:33], v[30:31], v[192:193]
	v_fmac_f64_e32 v[50:51], v[58:59], v[152:153]
	v_fma_f64 v[152:153], v[28:29], v[190:191], -v[32:33]
	v_mul_f64 v[142:143], v[28:29], v[192:193]
	v_mul_f64 v[28:29], v[26:27], v[188:189]
	v_fmac_f64_e32 v[52:53], v[66:67], v[146:147]
	v_fma_f64 v[158:159], v[24:25], v[186:187], -v[28:29]
	v_mul_f64 v[146:147], v[24:25], v[188:189]
	s_waitcnt vmcnt(0)
	v_mul_f64 v[24:25], v[94:95], v[196:197]
	v_fma_f64 v[162:163], v[92:93], v[194:195], -v[24:25]
	v_add_f64 v[24:25], v[20:21], v[114:115]
	v_add_f64 v[24:25], v[24:25], v[122:123]
	;; [unrolled: 1-line block ×3, first 2 shown]
	v_fmac_f64_e32 v[48:49], v[54:55], v[116:117]
	v_add_f64 v[116:117], v[24:25], v[140:141]
	v_add_f64 v[24:25], v[122:123], v[124:125]
	v_fma_f64 v[64:65], -0.5, v[24:25], v[20:21]
	v_add_f64 v[24:25], v[120:121], -v[126:127]
	v_fmac_f64_e32 v[142:143], v[30:31], v[190:191]
	v_fmac_f64_e32 v[146:147], v[26:27], v[186:187]
	v_fma_f64 v[112:113], s[10:11], v[24:25], v[64:65]
	v_add_f64 v[26:27], v[102:103], -v[100:101]
	v_add_f64 v[28:29], v[114:115], -v[122:123]
	;; [unrolled: 1-line block ×3, first 2 shown]
	v_fmac_f64_e32 v[64:65], s[14:15], v[24:25]
	v_fmac_f64_e32 v[112:113], s[4:5], v[26:27]
	v_add_f64 v[28:29], v[28:29], v[30:31]
	v_fmac_f64_e32 v[64:65], s[16:17], v[26:27]
	v_fmac_f64_e32 v[112:113], s[12:13], v[28:29]
	;; [unrolled: 1-line block ×3, first 2 shown]
	v_add_f64 v[28:29], v[114:115], v[140:141]
	v_fmac_f64_e32 v[20:21], -0.5, v[28:29]
	v_fma_f64 v[108:109], s[14:15], v[26:27], v[20:21]
	v_fmac_f64_e32 v[20:21], s[10:11], v[26:27]
	v_fmac_f64_e32 v[108:109], s[4:5], v[24:25]
	;; [unrolled: 1-line block ×3, first 2 shown]
	v_add_f64 v[24:25], v[22:23], v[120:121]
	v_add_f64 v[24:25], v[24:25], v[102:103]
	;; [unrolled: 1-line block ×3, first 2 shown]
	v_add_f64 v[28:29], v[122:123], -v[114:115]
	v_add_f64 v[30:31], v[124:125], -v[140:141]
	v_add_f64 v[118:119], v[24:25], v[126:127]
	v_add_f64 v[24:25], v[102:103], v[100:101]
	;; [unrolled: 1-line block ×3, first 2 shown]
	v_fma_f64 v[66:67], -0.5, v[24:25], v[22:23]
	v_add_f64 v[24:25], v[114:115], -v[140:141]
	v_fmac_f64_e32 v[108:109], s[12:13], v[28:29]
	v_fmac_f64_e32 v[20:21], s[12:13], v[28:29]
	v_fma_f64 v[114:115], s[14:15], v[24:25], v[66:67]
	v_add_f64 v[26:27], v[122:123], -v[124:125]
	v_add_f64 v[28:29], v[120:121], -v[102:103]
	;; [unrolled: 1-line block ×3, first 2 shown]
	v_fmac_f64_e32 v[66:67], s[10:11], v[24:25]
	v_fmac_f64_e32 v[114:115], s[16:17], v[26:27]
	v_add_f64 v[28:29], v[28:29], v[30:31]
	v_fmac_f64_e32 v[66:67], s[4:5], v[26:27]
	v_fmac_f64_e32 v[114:115], s[12:13], v[28:29]
	;; [unrolled: 1-line block ×3, first 2 shown]
	v_add_f64 v[28:29], v[120:121], v[126:127]
	v_fmac_f64_e32 v[22:23], -0.5, v[28:29]
	v_fma_f64 v[110:111], s[10:11], v[26:27], v[22:23]
	v_fmac_f64_e32 v[22:23], s[14:15], v[26:27]
	v_fmac_f64_e32 v[110:111], s[16:17], v[24:25]
	;; [unrolled: 1-line block ×3, first 2 shown]
	v_add_f64 v[24:25], v[16:17], v[164:165]
	v_add_f64 v[24:25], v[24:25], v[170:171]
	;; [unrolled: 1-line block ×3, first 2 shown]
	v_mul_f64 v[54:55], v[78:79], v[180:181]
	v_add_f64 v[28:29], v[102:103], -v[120:121]
	v_add_f64 v[30:31], v[100:101], -v[126:127]
	v_add_f64 v[104:105], v[24:25], v[174:175]
	v_add_f64 v[24:25], v[170:171], v[172:173]
	v_fma_f64 v[58:59], v[76:77], v[178:179], -v[54:55]
	v_mul_f64 v[54:55], v[76:77], v[180:181]
	v_add_f64 v[28:29], v[28:29], v[30:31]
	v_fma_f64 v[76:77], -0.5, v[24:25], v[16:17]
	v_add_f64 v[24:25], v[166:167], -v[168:169]
	v_fmac_f64_e32 v[110:111], s[12:13], v[28:29]
	v_fmac_f64_e32 v[22:23], s[12:13], v[28:29]
	v_fma_f64 v[100:101], s[10:11], v[24:25], v[76:77]
	v_add_f64 v[26:27], v[70:71], -v[68:69]
	v_add_f64 v[28:29], v[164:165], -v[170:171]
	;; [unrolled: 1-line block ×3, first 2 shown]
	v_fmac_f64_e32 v[76:77], s[14:15], v[24:25]
	v_fmac_f64_e32 v[100:101], s[4:5], v[26:27]
	v_add_f64 v[28:29], v[28:29], v[30:31]
	v_fmac_f64_e32 v[76:77], s[16:17], v[26:27]
	v_fmac_f64_e32 v[100:101], s[12:13], v[28:29]
	v_fmac_f64_e32 v[76:77], s[12:13], v[28:29]
	v_add_f64 v[28:29], v[164:165], v[174:175]
	v_fmac_f64_e32 v[16:17], -0.5, v[28:29]
	v_mul_f64 v[154:155], v[92:93], v[196:197]
	v_fma_f64 v[92:93], s[14:15], v[26:27], v[16:17]
	v_fmac_f64_e32 v[16:17], s[10:11], v[26:27]
	v_fmac_f64_e32 v[92:93], s[4:5], v[24:25]
	;; [unrolled: 1-line block ×3, first 2 shown]
	v_add_f64 v[24:25], v[18:19], v[166:167]
	v_add_f64 v[24:25], v[24:25], v[70:71]
	;; [unrolled: 1-line block ×3, first 2 shown]
	v_add_f64 v[28:29], v[170:171], -v[164:165]
	v_add_f64 v[30:31], v[172:173], -v[174:175]
	v_add_f64 v[106:107], v[24:25], v[168:169]
	v_add_f64 v[24:25], v[70:71], v[68:69]
	v_fmac_f64_e32 v[54:55], v[78:79], v[178:179]
	v_add_f64 v[28:29], v[28:29], v[30:31]
	v_fma_f64 v[78:79], -0.5, v[24:25], v[18:19]
	v_add_f64 v[24:25], v[164:165], -v[174:175]
	v_fmac_f64_e32 v[92:93], s[12:13], v[28:29]
	v_fmac_f64_e32 v[16:17], s[12:13], v[28:29]
	v_fma_f64 v[102:103], s[14:15], v[24:25], v[78:79]
	v_add_f64 v[26:27], v[170:171], -v[172:173]
	v_add_f64 v[28:29], v[166:167], -v[70:71]
	;; [unrolled: 1-line block ×3, first 2 shown]
	v_fmac_f64_e32 v[78:79], s[10:11], v[24:25]
	v_fmac_f64_e32 v[102:103], s[16:17], v[26:27]
	v_add_f64 v[28:29], v[28:29], v[30:31]
	v_fmac_f64_e32 v[78:79], s[4:5], v[26:27]
	v_fmac_f64_e32 v[102:103], s[12:13], v[28:29]
	;; [unrolled: 1-line block ×3, first 2 shown]
	v_add_f64 v[28:29], v[166:167], v[168:169]
	v_fmac_f64_e32 v[18:19], -0.5, v[28:29]
	v_fmac_f64_e32 v[154:155], v[94:95], v[194:195]
	v_fma_f64 v[94:95], s[10:11], v[26:27], v[18:19]
	v_fmac_f64_e32 v[18:19], s[14:15], v[26:27]
	v_fmac_f64_e32 v[94:95], s[16:17], v[24:25]
	v_fmac_f64_e32 v[18:19], s[4:5], v[24:25]
	v_add_f64 v[24:25], v[8:9], v[156:157]
	v_add_f64 v[24:25], v[24:25], v[82:83]
	v_add_f64 v[24:25], v[24:25], v[160:161]
	v_add_f64 v[28:29], v[70:71], -v[166:167]
	v_add_f64 v[30:31], v[68:69], -v[168:169]
	v_add_f64 v[96:97], v[24:25], v[90:91]
	v_add_f64 v[24:25], v[82:83], v[160:161]
	v_add_f64 v[28:29], v[28:29], v[30:31]
	v_fma_f64 v[68:69], -0.5, v[24:25], v[8:9]
	v_add_f64 v[24:25], v[72:73], -v[86:87]
	v_fmac_f64_e32 v[94:95], s[12:13], v[28:29]
	v_fmac_f64_e32 v[18:19], s[12:13], v[28:29]
	v_fma_f64 v[88:89], s[10:11], v[24:25], v[68:69]
	v_add_f64 v[26:27], v[144:145], -v[150:151]
	v_add_f64 v[28:29], v[156:157], -v[82:83]
	v_add_f64 v[30:31], v[90:91], -v[160:161]
	v_fmac_f64_e32 v[68:69], s[14:15], v[24:25]
	v_fmac_f64_e32 v[88:89], s[4:5], v[26:27]
	v_add_f64 v[28:29], v[28:29], v[30:31]
	v_fmac_f64_e32 v[68:69], s[16:17], v[26:27]
	v_fmac_f64_e32 v[88:89], s[12:13], v[28:29]
	v_fmac_f64_e32 v[68:69], s[12:13], v[28:29]
	v_add_f64 v[28:29], v[156:157], v[90:91]
	v_fmac_f64_e32 v[8:9], -0.5, v[28:29]
	v_fma_f64 v[80:81], s[14:15], v[26:27], v[8:9]
	v_fmac_f64_e32 v[8:9], s[10:11], v[26:27]
	v_fmac_f64_e32 v[80:81], s[4:5], v[24:25]
	v_fmac_f64_e32 v[8:9], s[16:17], v[24:25]
	v_add_f64 v[24:25], v[10:11], v[72:73]
	v_add_f64 v[24:25], v[24:25], v[144:145]
	v_add_f64 v[24:25], v[24:25], v[150:151]
	v_add_f64 v[28:29], v[82:83], -v[156:157]
	v_add_f64 v[30:31], v[160:161], -v[90:91]
	v_add_f64 v[98:99], v[24:25], v[86:87]
	v_add_f64 v[24:25], v[144:145], v[150:151]
	v_add_f64 v[28:29], v[28:29], v[30:31]
	v_fma_f64 v[70:71], -0.5, v[24:25], v[10:11]
	v_add_f64 v[24:25], v[156:157], -v[90:91]
	v_fmac_f64_e32 v[80:81], s[12:13], v[28:29]
	v_fmac_f64_e32 v[8:9], s[12:13], v[28:29]
	v_fma_f64 v[90:91], s[14:15], v[24:25], v[70:71]
	v_add_f64 v[26:27], v[82:83], -v[160:161]
	v_add_f64 v[28:29], v[72:73], -v[144:145]
	v_add_f64 v[30:31], v[86:87], -v[150:151]
	v_fmac_f64_e32 v[70:71], s[10:11], v[24:25]
	v_fmac_f64_e32 v[90:91], s[16:17], v[26:27]
	v_add_f64 v[28:29], v[28:29], v[30:31]
	v_fmac_f64_e32 v[70:71], s[4:5], v[26:27]
	v_fmac_f64_e32 v[90:91], s[12:13], v[28:29]
	v_fmac_f64_e32 v[70:71], s[12:13], v[28:29]
	v_add_f64 v[28:29], v[72:73], v[86:87]
	v_fmac_f64_e32 v[10:11], -0.5, v[28:29]
	;; [unrolled: 28-line block ×3, first 2 shown]
	v_fma_f64 v[28:29], s[14:15], v[30:31], v[4:5]
	v_fmac_f64_e32 v[4:5], s[10:11], v[30:31]
	v_fmac_f64_e32 v[28:29], s[4:5], v[26:27]
	;; [unrolled: 1-line block ×3, first 2 shown]
	v_add_f64 v[26:27], v[6:7], v[36:37]
	v_add_f64 v[26:27], v[26:27], v[40:41]
	v_fmac_f64_e32 v[138:139], v[34:35], v[182:183]
	v_add_f64 v[32:33], v[62:63], -v[60:61]
	v_add_f64 v[34:35], v[128:129], -v[74:75]
	v_add_f64 v[26:27], v[26:27], v[42:43]
	v_add_f64 v[32:33], v[32:33], v[34:35]
	;; [unrolled: 1-line block ×4, first 2 shown]
	v_fmac_f64_e32 v[28:29], s[12:13], v[32:33]
	v_fmac_f64_e32 v[4:5], s[12:13], v[32:33]
	v_fma_f64 v[26:27], -0.5, v[26:27], v[6:7]
	v_add_f64 v[32:33], v[60:61], -v[74:75]
	v_fma_f64 v[74:75], s[14:15], v[32:33], v[26:27]
	v_add_f64 v[34:35], v[62:63], -v[128:129]
	v_add_f64 v[30:31], v[36:37], -v[40:41]
	;; [unrolled: 1-line block ×3, first 2 shown]
	v_fmac_f64_e32 v[26:27], s[10:11], v[32:33]
	v_fmac_f64_e32 v[74:75], s[16:17], v[34:35]
	v_add_f64 v[30:31], v[30:31], v[60:61]
	v_fmac_f64_e32 v[26:27], s[4:5], v[34:35]
	v_fmac_f64_e32 v[74:75], s[12:13], v[30:31]
	;; [unrolled: 1-line block ×3, first 2 shown]
	v_add_f64 v[30:31], v[36:37], v[44:45]
	v_fmac_f64_e32 v[6:7], -0.5, v[30:31]
	v_fma_f64 v[30:31], s[10:11], v[34:35], v[6:7]
	v_fmac_f64_e32 v[6:7], s[14:15], v[34:35]
	v_fmac_f64_e32 v[30:31], s[16:17], v[32:33]
	;; [unrolled: 1-line block ×3, first 2 shown]
	v_add_f64 v[32:33], v[12:13], v[38:39]
	v_add_f64 v[32:33], v[32:33], v[46:47]
	v_add_f64 v[36:37], v[40:41], -v[36:37]
	v_add_f64 v[40:41], v[42:43], -v[44:45]
	v_add_f64 v[32:33], v[32:33], v[56:57]
	v_add_f64 v[36:37], v[36:37], v[40:41]
	;; [unrolled: 1-line block ×4, first 2 shown]
	v_fma_f64 v[32:33], -0.5, v[32:33], v[12:13]
	v_add_f64 v[34:35], v[48:49], -v[54:55]
	v_fmac_f64_e32 v[30:31], s[12:13], v[36:37]
	v_fmac_f64_e32 v[6:7], s[12:13], v[36:37]
	v_fma_f64 v[36:37], s[10:11], v[34:35], v[32:33]
	v_add_f64 v[42:43], v[50:51], -v[52:53]
	v_add_f64 v[44:45], v[38:39], -v[46:47]
	;; [unrolled: 1-line block ×3, first 2 shown]
	v_fmac_f64_e32 v[32:33], s[14:15], v[34:35]
	v_fmac_f64_e32 v[36:37], s[4:5], v[42:43]
	v_add_f64 v[44:45], v[44:45], v[60:61]
	v_fmac_f64_e32 v[32:33], s[16:17], v[42:43]
	v_fmac_f64_e32 v[36:37], s[12:13], v[44:45]
	;; [unrolled: 1-line block ×3, first 2 shown]
	v_add_f64 v[44:45], v[38:39], v[58:59]
	v_fmac_f64_e32 v[12:13], -0.5, v[44:45]
	v_fma_f64 v[44:45], s[14:15], v[42:43], v[12:13]
	v_fmac_f64_e32 v[12:13], s[10:11], v[42:43]
	v_fmac_f64_e32 v[44:45], s[4:5], v[34:35]
	;; [unrolled: 1-line block ×3, first 2 shown]
	v_add_f64 v[34:35], v[14:15], v[48:49]
	v_add_f64 v[34:35], v[34:35], v[50:51]
	;; [unrolled: 1-line block ×3, first 2 shown]
	v_add_f64 v[60:61], v[46:47], -v[38:39]
	v_add_f64 v[62:63], v[56:57], -v[58:59]
	v_add_f64 v[42:43], v[34:35], v[54:55]
	v_add_f64 v[34:35], v[50:51], v[52:53]
	;; [unrolled: 1-line block ×3, first 2 shown]
	v_fma_f64 v[34:35], -0.5, v[34:35], v[14:15]
	v_add_f64 v[58:59], v[38:39], -v[58:59]
	v_fmac_f64_e32 v[44:45], s[12:13], v[60:61]
	v_fmac_f64_e32 v[12:13], s[12:13], v[60:61]
	v_fma_f64 v[38:39], s[14:15], v[58:59], v[34:35]
	v_add_f64 v[56:57], v[46:47], -v[56:57]
	v_add_f64 v[46:47], v[48:49], -v[50:51]
	;; [unrolled: 1-line block ×3, first 2 shown]
	v_fmac_f64_e32 v[34:35], s[10:11], v[58:59]
	v_fmac_f64_e32 v[38:39], s[16:17], v[56:57]
	v_add_f64 v[46:47], v[46:47], v[60:61]
	v_fmac_f64_e32 v[34:35], s[4:5], v[56:57]
	v_fmac_f64_e32 v[38:39], s[12:13], v[46:47]
	v_fmac_f64_e32 v[34:35], s[12:13], v[46:47]
	v_add_f64 v[46:47], v[48:49], v[54:55]
	v_fmac_f64_e32 v[14:15], -0.5, v[46:47]
	v_fma_f64 v[46:47], s[10:11], v[56:57], v[14:15]
	v_add_f64 v[48:49], v[50:51], -v[48:49]
	v_add_f64 v[50:51], v[52:53], -v[54:55]
	v_fmac_f64_e32 v[14:15], s[14:15], v[56:57]
	v_fmac_f64_e32 v[46:47], s[16:17], v[58:59]
	v_add_f64 v[48:49], v[48:49], v[50:51]
	v_fmac_f64_e32 v[14:15], s[4:5], v[58:59]
	v_fmac_f64_e32 v[46:47], s[12:13], v[48:49]
	v_fmac_f64_e32 v[14:15], s[12:13], v[48:49]
	v_add_f64 v[48:49], v[0:1], v[148:149]
	v_add_f64 v[48:49], v[48:49], v[152:153]
	;; [unrolled: 1-line block ×5, first 2 shown]
	v_fma_f64 v[48:49], -0.5, v[48:49], v[0:1]
	v_add_f64 v[50:51], v[138:139], -v[154:155]
	v_fma_f64 v[52:53], s[10:11], v[50:51], v[48:49]
	v_add_f64 v[54:55], v[142:143], -v[146:147]
	v_add_f64 v[58:59], v[148:149], -v[152:153]
	;; [unrolled: 1-line block ×3, first 2 shown]
	v_fmac_f64_e32 v[48:49], s[14:15], v[50:51]
	v_fmac_f64_e32 v[52:53], s[4:5], v[54:55]
	v_add_f64 v[58:59], v[58:59], v[60:61]
	v_fmac_f64_e32 v[48:49], s[16:17], v[54:55]
	v_fmac_f64_e32 v[52:53], s[12:13], v[58:59]
	;; [unrolled: 1-line block ×3, first 2 shown]
	v_add_f64 v[58:59], v[148:149], v[162:163]
	v_fmac_f64_e32 v[0:1], -0.5, v[58:59]
	v_fma_f64 v[60:61], s[14:15], v[54:55], v[0:1]
	v_fmac_f64_e32 v[0:1], s[10:11], v[54:55]
	v_fmac_f64_e32 v[60:61], s[4:5], v[50:51]
	;; [unrolled: 1-line block ×3, first 2 shown]
	v_add_f64 v[50:51], v[2:3], v[138:139]
	v_add_f64 v[58:59], v[152:153], -v[148:149]
	v_add_f64 v[62:63], v[158:159], -v[162:163]
	v_add_f64 v[50:51], v[50:51], v[142:143]
	v_add_f64 v[58:59], v[58:59], v[62:63]
	;; [unrolled: 1-line block ×3, first 2 shown]
	v_fmac_f64_e32 v[60:61], s[12:13], v[58:59]
	v_fmac_f64_e32 v[0:1], s[12:13], v[58:59]
	v_add_f64 v[58:59], v[50:51], v[154:155]
	v_add_f64 v[50:51], v[142:143], v[146:147]
	v_fma_f64 v[50:51], -0.5, v[50:51], v[2:3]
	v_add_f64 v[120:121], v[148:149], -v[162:163]
	v_fma_f64 v[54:55], s[14:15], v[120:121], v[50:51]
	v_add_f64 v[122:123], v[152:153], -v[158:159]
	v_add_f64 v[62:63], v[138:139], -v[142:143]
	;; [unrolled: 1-line block ×3, first 2 shown]
	v_fmac_f64_e32 v[50:51], s[10:11], v[120:121]
	v_fmac_f64_e32 v[54:55], s[16:17], v[122:123]
	v_add_f64 v[62:63], v[62:63], v[124:125]
	v_fmac_f64_e32 v[50:51], s[4:5], v[122:123]
	v_fmac_f64_e32 v[54:55], s[12:13], v[62:63]
	;; [unrolled: 1-line block ×3, first 2 shown]
	v_add_f64 v[62:63], v[138:139], v[154:155]
	v_fmac_f64_e32 v[2:3], -0.5, v[62:63]
	v_fma_f64 v[62:63], s[10:11], v[122:123], v[2:3]
	v_add_f64 v[124:125], v[142:143], -v[138:139]
	v_add_f64 v[126:127], v[146:147], -v[154:155]
	v_fmac_f64_e32 v[2:3], s[14:15], v[122:123]
	v_fmac_f64_e32 v[62:63], s[16:17], v[120:121]
	v_add_f64 v[124:125], v[124:125], v[126:127]
	v_fmac_f64_e32 v[2:3], s[4:5], v[120:121]
	v_fmac_f64_e32 v[62:63], s[12:13], v[124:125]
	;; [unrolled: 1-line block ×3, first 2 shown]
	ds_write_b128 v176, v[116:119]
	ds_write_b128 v176, v[112:115] offset:12000
	ds_write_b128 v176, v[108:111] offset:24000
	;; [unrolled: 1-line block ×9, first 2 shown]
	ds_write_b128 v133, v[96:99]
	ds_write_b128 v133, v[88:91] offset:12000
	ds_write_b128 v133, v[80:83] offset:24000
	;; [unrolled: 1-line block ×4, first 2 shown]
	ds_write_b128 v177, v[84:87]
	ds_write_b128 v177, v[72:75] offset:12000
	ds_write_b128 v177, v[28:31] offset:24000
	ds_write_b128 v177, v[4:7] offset:36000
	ds_write_b128 v177, v[24:27] offset:48000
	ds_write_b128 v176, v[40:43] offset:8000
	ds_write_b128 v176, v[36:39] offset:20000
	ds_write_b128 v176, v[44:47] offset:32000
	ds_write_b128 v176, v[12:15] offset:44000
	ds_write_b128 v176, v[32:35] offset:56000
	ds_write_b128 v176, v[56:59] offset:10000
	ds_write_b128 v176, v[52:55] offset:22000
	ds_write_b128 v176, v[60:63] offset:34000
	ds_write_b128 v176, v[0:3] offset:46000
	ds_write_b128 v176, v[48:51] offset:58000
	s_waitcnt lgkmcnt(0)
	s_barrier
	s_and_saveexec_b64 s[4:5], s[0:1]
	s_cbranch_execz .LBB0_21
; %bb.20:
	v_mul_lo_u32 v2, s3, v134
	v_mul_lo_u32 v3, s2, v135
	v_mad_u64_u32 v[0:1], s[0:1], s2, v134, 0
	v_lshl_add_u32 v16, v132, 4, 0
	v_add3_u32 v1, v1, v3, v2
	ds_read_b128 v[2:5], v16
	v_lshl_add_u64 v[0:1], v[0:1], 4, s[6:7]
	v_mov_b32_e32 v133, v137
	v_lshl_add_u64 v[0:1], v[130:131], 4, v[0:1]
	ds_read_b128 v[6:9], v16 offset:58000
	ds_read_b128 v[10:13], v16 offset:2000
	v_lshl_add_u64 v[14:15], v[132:133], 4, v[0:1]
	s_waitcnt lgkmcnt(2)
	global_store_dwordx4 v[14:15], v[2:5], off
	ds_read_b128 v[2:5], v16 offset:4000
	v_add_u32_e32 v136, 0x7d, v132
	v_lshl_add_u64 v[14:15], v[136:137], 4, v[0:1]
	s_waitcnt lgkmcnt(1)
	global_store_dwordx4 v[14:15], v[10:13], off
	ds_read_b128 v[10:13], v16 offset:6000
	v_add_u32_e32 v136, 0xfa, v132
	;; [unrolled: 5-line block ×15, first 2 shown]
	v_lshl_add_u64 v[14:15], v[136:137], 4, v[0:1]
	s_waitcnt lgkmcnt(1)
	global_store_dwordx4 v[14:15], v[10:13], off
	v_add_u32_e32 v136, 0x7d0, v132
	ds_read_b128 v[10:13], v16 offset:34000
	v_lshl_add_u64 v[14:15], v[136:137], 4, v[0:1]
	s_waitcnt lgkmcnt(1)
	global_store_dwordx4 v[14:15], v[2:5], off
	ds_read_b128 v[2:5], v16 offset:36000
	v_add_u32_e32 v136, 0x84d, v132
	v_lshl_add_u64 v[14:15], v[136:137], 4, v[0:1]
	s_waitcnt lgkmcnt(1)
	global_store_dwordx4 v[14:15], v[10:13], off
	v_add_u32_e32 v136, 0x8ca, v132
	ds_read_b128 v[10:13], v16 offset:38000
	v_lshl_add_u64 v[14:15], v[136:137], 4, v[0:1]
	s_waitcnt lgkmcnt(1)
	global_store_dwordx4 v[14:15], v[2:5], off
	ds_read_b128 v[2:5], v16 offset:40000
	v_add_u32_e32 v136, 0x947, v132
	;; [unrolled: 10-line block ×6, first 2 shown]
	v_lshl_add_u64 v[14:15], v[136:137], 4, v[0:1]
	v_add_u32_e32 v136, 0xdac, v132
	s_waitcnt lgkmcnt(1)
	global_store_dwordx4 v[14:15], v[10:13], off
	s_nop 1
	v_lshl_add_u64 v[10:11], v[136:137], 4, v[0:1]
	v_add_u32_e32 v136, 0xe29, v132
	v_lshl_add_u64 v[0:1], v[136:137], 4, v[0:1]
	s_waitcnt lgkmcnt(0)
	global_store_dwordx4 v[10:11], v[2:5], off
	global_store_dwordx4 v[0:1], v[6:9], off
.LBB0_21:
	s_endpgm
	.section	.rodata,"a",@progbits
	.p2align	6, 0x0
	.amdhsa_kernel fft_rtc_fwd_len3750_factors_3_5_5_10_5_wgs_125_tpt_125_halfLds_dp_op_CI_CI_unitstride_sbrr_C2R_dirReg
		.amdhsa_group_segment_fixed_size 0
		.amdhsa_private_segment_fixed_size 0
		.amdhsa_kernarg_size 104
		.amdhsa_user_sgpr_count 2
		.amdhsa_user_sgpr_dispatch_ptr 0
		.amdhsa_user_sgpr_queue_ptr 0
		.amdhsa_user_sgpr_kernarg_segment_ptr 1
		.amdhsa_user_sgpr_dispatch_id 0
		.amdhsa_user_sgpr_kernarg_preload_length 0
		.amdhsa_user_sgpr_kernarg_preload_offset 0
		.amdhsa_user_sgpr_private_segment_size 0
		.amdhsa_uses_dynamic_stack 0
		.amdhsa_enable_private_segment 0
		.amdhsa_system_sgpr_workgroup_id_x 1
		.amdhsa_system_sgpr_workgroup_id_y 0
		.amdhsa_system_sgpr_workgroup_id_z 0
		.amdhsa_system_sgpr_workgroup_info 0
		.amdhsa_system_vgpr_workitem_id 0
		.amdhsa_next_free_vgpr 210
		.amdhsa_next_free_sgpr 28
		.amdhsa_accum_offset 212
		.amdhsa_reserve_vcc 1
		.amdhsa_float_round_mode_32 0
		.amdhsa_float_round_mode_16_64 0
		.amdhsa_float_denorm_mode_32 3
		.amdhsa_float_denorm_mode_16_64 3
		.amdhsa_dx10_clamp 1
		.amdhsa_ieee_mode 1
		.amdhsa_fp16_overflow 0
		.amdhsa_tg_split 0
		.amdhsa_exception_fp_ieee_invalid_op 0
		.amdhsa_exception_fp_denorm_src 0
		.amdhsa_exception_fp_ieee_div_zero 0
		.amdhsa_exception_fp_ieee_overflow 0
		.amdhsa_exception_fp_ieee_underflow 0
		.amdhsa_exception_fp_ieee_inexact 0
		.amdhsa_exception_int_div_zero 0
	.end_amdhsa_kernel
	.text
.Lfunc_end0:
	.size	fft_rtc_fwd_len3750_factors_3_5_5_10_5_wgs_125_tpt_125_halfLds_dp_op_CI_CI_unitstride_sbrr_C2R_dirReg, .Lfunc_end0-fft_rtc_fwd_len3750_factors_3_5_5_10_5_wgs_125_tpt_125_halfLds_dp_op_CI_CI_unitstride_sbrr_C2R_dirReg
                                        ; -- End function
	.section	.AMDGPU.csdata,"",@progbits
; Kernel info:
; codeLenInByte = 23772
; NumSgprs: 34
; NumVgprs: 210
; NumAgprs: 0
; TotalNumVgprs: 210
; ScratchSize: 0
; MemoryBound: 0
; FloatMode: 240
; IeeeMode: 1
; LDSByteSize: 0 bytes/workgroup (compile time only)
; SGPRBlocks: 4
; VGPRBlocks: 26
; NumSGPRsForWavesPerEU: 34
; NumVGPRsForWavesPerEU: 210
; AccumOffset: 212
; Occupancy: 2
; WaveLimiterHint : 1
; COMPUTE_PGM_RSRC2:SCRATCH_EN: 0
; COMPUTE_PGM_RSRC2:USER_SGPR: 2
; COMPUTE_PGM_RSRC2:TRAP_HANDLER: 0
; COMPUTE_PGM_RSRC2:TGID_X_EN: 1
; COMPUTE_PGM_RSRC2:TGID_Y_EN: 0
; COMPUTE_PGM_RSRC2:TGID_Z_EN: 0
; COMPUTE_PGM_RSRC2:TIDIG_COMP_CNT: 0
; COMPUTE_PGM_RSRC3_GFX90A:ACCUM_OFFSET: 52
; COMPUTE_PGM_RSRC3_GFX90A:TG_SPLIT: 0
	.text
	.p2alignl 6, 3212836864
	.fill 256, 4, 3212836864
	.type	__hip_cuid_232e1abc297dc39b,@object ; @__hip_cuid_232e1abc297dc39b
	.section	.bss,"aw",@nobits
	.globl	__hip_cuid_232e1abc297dc39b
__hip_cuid_232e1abc297dc39b:
	.byte	0                               ; 0x0
	.size	__hip_cuid_232e1abc297dc39b, 1

	.ident	"AMD clang version 19.0.0git (https://github.com/RadeonOpenCompute/llvm-project roc-6.4.0 25133 c7fe45cf4b819c5991fe208aaa96edf142730f1d)"
	.section	".note.GNU-stack","",@progbits
	.addrsig
	.addrsig_sym __hip_cuid_232e1abc297dc39b
	.amdgpu_metadata
---
amdhsa.kernels:
  - .agpr_count:     0
    .args:
      - .actual_access:  read_only
        .address_space:  global
        .offset:         0
        .size:           8
        .value_kind:     global_buffer
      - .offset:         8
        .size:           8
        .value_kind:     by_value
      - .actual_access:  read_only
        .address_space:  global
        .offset:         16
        .size:           8
        .value_kind:     global_buffer
      - .actual_access:  read_only
        .address_space:  global
        .offset:         24
        .size:           8
        .value_kind:     global_buffer
      - .actual_access:  read_only
        .address_space:  global
        .offset:         32
        .size:           8
        .value_kind:     global_buffer
      - .offset:         40
        .size:           8
        .value_kind:     by_value
      - .actual_access:  read_only
        .address_space:  global
        .offset:         48
        .size:           8
        .value_kind:     global_buffer
      - .actual_access:  read_only
        .address_space:  global
        .offset:         56
        .size:           8
        .value_kind:     global_buffer
      - .offset:         64
        .size:           4
        .value_kind:     by_value
      - .actual_access:  read_only
        .address_space:  global
        .offset:         72
        .size:           8
        .value_kind:     global_buffer
      - .actual_access:  read_only
        .address_space:  global
        .offset:         80
        .size:           8
        .value_kind:     global_buffer
      - .actual_access:  read_only
        .address_space:  global
        .offset:         88
        .size:           8
        .value_kind:     global_buffer
      - .actual_access:  write_only
        .address_space:  global
        .offset:         96
        .size:           8
        .value_kind:     global_buffer
    .group_segment_fixed_size: 0
    .kernarg_segment_align: 8
    .kernarg_segment_size: 104
    .language:       OpenCL C
    .language_version:
      - 2
      - 0
    .max_flat_workgroup_size: 125
    .name:           fft_rtc_fwd_len3750_factors_3_5_5_10_5_wgs_125_tpt_125_halfLds_dp_op_CI_CI_unitstride_sbrr_C2R_dirReg
    .private_segment_fixed_size: 0
    .sgpr_count:     34
    .sgpr_spill_count: 0
    .symbol:         fft_rtc_fwd_len3750_factors_3_5_5_10_5_wgs_125_tpt_125_halfLds_dp_op_CI_CI_unitstride_sbrr_C2R_dirReg.kd
    .uniform_work_group_size: 1
    .uses_dynamic_stack: false
    .vgpr_count:     210
    .vgpr_spill_count: 0
    .wavefront_size: 64
amdhsa.target:   amdgcn-amd-amdhsa--gfx950
amdhsa.version:
  - 1
  - 2
...

	.end_amdgpu_metadata
